;; amdgpu-corpus repo=ROCm/rocFFT kind=compiled arch=gfx1201 opt=O3
	.text
	.amdgcn_target "amdgcn-amd-amdhsa--gfx1201"
	.amdhsa_code_object_version 6
	.protected	fft_rtc_fwd_len1188_factors_6_11_2_3_3_wgs_198_tpt_66_halfLds_half_ip_CI_unitstride_sbrr_R2C_dirReg ; -- Begin function fft_rtc_fwd_len1188_factors_6_11_2_3_3_wgs_198_tpt_66_halfLds_half_ip_CI_unitstride_sbrr_R2C_dirReg
	.globl	fft_rtc_fwd_len1188_factors_6_11_2_3_3_wgs_198_tpt_66_halfLds_half_ip_CI_unitstride_sbrr_R2C_dirReg
	.p2align	8
	.type	fft_rtc_fwd_len1188_factors_6_11_2_3_3_wgs_198_tpt_66_halfLds_half_ip_CI_unitstride_sbrr_R2C_dirReg,@function
fft_rtc_fwd_len1188_factors_6_11_2_3_3_wgs_198_tpt_66_halfLds_half_ip_CI_unitstride_sbrr_R2C_dirReg: ; @fft_rtc_fwd_len1188_factors_6_11_2_3_3_wgs_198_tpt_66_halfLds_half_ip_CI_unitstride_sbrr_R2C_dirReg
; %bb.0:
	s_load_b128 s[4:7], s[0:1], 0x0
	v_mul_u32_u24_e32 v1, 0x3e1, v0
	s_clause 0x1
	s_load_b64 s[8:9], s[0:1], 0x50
	s_load_b64 s[10:11], s[0:1], 0x18
	v_mov_b32_e32 v5, 0
	v_lshrrev_b32_e32 v1, 16, v1
	s_delay_alu instid0(VALU_DEP_1) | instskip(SKIP_3) | instid1(VALU_DEP_1)
	v_mad_co_u64_u32 v[1:2], null, ttmp9, 3, v[1:2]
	v_mov_b32_e32 v3, 0
	v_mov_b32_e32 v4, 0
	;; [unrolled: 1-line block ×4, first 2 shown]
	s_wait_kmcnt 0x0
	v_cmp_lt_u64_e64 s2, s[6:7], 2
	v_mov_b32_e32 v9, v1
	s_delay_alu instid0(VALU_DEP_2)
	s_and_b32 vcc_lo, exec_lo, s2
	s_cbranch_vccnz .LBB0_8
; %bb.1:
	s_load_b64 s[2:3], s[0:1], 0x10
	v_dual_mov_b32 v3, 0 :: v_dual_mov_b32 v8, v2
	v_dual_mov_b32 v4, 0 :: v_dual_mov_b32 v7, v1
	s_add_nc_u64 s[12:13], s[10:11], 8
	s_mov_b64 s[14:15], 1
	s_wait_kmcnt 0x0
	s_add_nc_u64 s[16:17], s[2:3], 8
	s_mov_b32 s3, 0
.LBB0_2:                                ; =>This Inner Loop Header: Depth=1
	s_load_b64 s[18:19], s[16:17], 0x0
                                        ; implicit-def: $vgpr9_vgpr10
	s_mov_b32 s2, exec_lo
	s_wait_kmcnt 0x0
	v_or_b32_e32 v6, s19, v8
	s_delay_alu instid0(VALU_DEP_1)
	v_cmpx_ne_u64_e32 0, v[5:6]
	s_wait_alu 0xfffe
	s_xor_b32 s20, exec_lo, s2
	s_cbranch_execz .LBB0_4
; %bb.3:                                ;   in Loop: Header=BB0_2 Depth=1
	s_cvt_f32_u32 s2, s18
	s_cvt_f32_u32 s21, s19
	s_sub_nc_u64 s[24:25], 0, s[18:19]
	s_wait_alu 0xfffe
	s_delay_alu instid0(SALU_CYCLE_1) | instskip(SKIP_1) | instid1(SALU_CYCLE_2)
	s_fmamk_f32 s2, s21, 0x4f800000, s2
	s_wait_alu 0xfffe
	v_s_rcp_f32 s2, s2
	s_delay_alu instid0(TRANS32_DEP_1) | instskip(SKIP_1) | instid1(SALU_CYCLE_2)
	s_mul_f32 s2, s2, 0x5f7ffffc
	s_wait_alu 0xfffe
	s_mul_f32 s21, s2, 0x2f800000
	s_wait_alu 0xfffe
	s_delay_alu instid0(SALU_CYCLE_2) | instskip(SKIP_1) | instid1(SALU_CYCLE_2)
	s_trunc_f32 s21, s21
	s_wait_alu 0xfffe
	s_fmamk_f32 s2, s21, 0xcf800000, s2
	s_cvt_u32_f32 s23, s21
	s_wait_alu 0xfffe
	s_delay_alu instid0(SALU_CYCLE_1) | instskip(SKIP_1) | instid1(SALU_CYCLE_2)
	s_cvt_u32_f32 s22, s2
	s_wait_alu 0xfffe
	s_mul_u64 s[26:27], s[24:25], s[22:23]
	s_wait_alu 0xfffe
	s_mul_hi_u32 s29, s22, s27
	s_mul_i32 s28, s22, s27
	s_mul_hi_u32 s2, s22, s26
	s_mul_i32 s30, s23, s26
	s_wait_alu 0xfffe
	s_add_nc_u64 s[28:29], s[2:3], s[28:29]
	s_mul_hi_u32 s21, s23, s26
	s_mul_hi_u32 s31, s23, s27
	s_add_co_u32 s2, s28, s30
	s_wait_alu 0xfffe
	s_add_co_ci_u32 s2, s29, s21
	s_mul_i32 s26, s23, s27
	s_add_co_ci_u32 s27, s31, 0
	s_wait_alu 0xfffe
	s_add_nc_u64 s[26:27], s[2:3], s[26:27]
	s_wait_alu 0xfffe
	v_add_co_u32 v2, s2, s22, s26
	s_delay_alu instid0(VALU_DEP_1) | instskip(SKIP_1) | instid1(VALU_DEP_1)
	s_cmp_lg_u32 s2, 0
	s_add_co_ci_u32 s23, s23, s27
	v_readfirstlane_b32 s22, v2
	s_wait_alu 0xfffe
	s_delay_alu instid0(VALU_DEP_1)
	s_mul_u64 s[24:25], s[24:25], s[22:23]
	s_wait_alu 0xfffe
	s_mul_hi_u32 s27, s22, s25
	s_mul_i32 s26, s22, s25
	s_mul_hi_u32 s2, s22, s24
	s_mul_i32 s28, s23, s24
	s_wait_alu 0xfffe
	s_add_nc_u64 s[26:27], s[2:3], s[26:27]
	s_mul_hi_u32 s21, s23, s24
	s_mul_hi_u32 s22, s23, s25
	s_wait_alu 0xfffe
	s_add_co_u32 s2, s26, s28
	s_add_co_ci_u32 s2, s27, s21
	s_mul_i32 s24, s23, s25
	s_add_co_ci_u32 s25, s22, 0
	s_wait_alu 0xfffe
	s_add_nc_u64 s[24:25], s[2:3], s[24:25]
	s_wait_alu 0xfffe
	v_add_co_u32 v2, s2, v2, s24
	s_delay_alu instid0(VALU_DEP_1) | instskip(SKIP_1) | instid1(VALU_DEP_1)
	s_cmp_lg_u32 s2, 0
	s_add_co_ci_u32 s2, s23, s25
	v_mul_hi_u32 v6, v7, v2
	s_wait_alu 0xfffe
	v_mad_co_u64_u32 v[9:10], null, v7, s2, 0
	v_mad_co_u64_u32 v[11:12], null, v8, v2, 0
	;; [unrolled: 1-line block ×3, first 2 shown]
	s_delay_alu instid0(VALU_DEP_3) | instskip(SKIP_1) | instid1(VALU_DEP_4)
	v_add_co_u32 v2, vcc_lo, v6, v9
	s_wait_alu 0xfffd
	v_add_co_ci_u32_e32 v6, vcc_lo, 0, v10, vcc_lo
	s_delay_alu instid0(VALU_DEP_2) | instskip(SKIP_1) | instid1(VALU_DEP_2)
	v_add_co_u32 v2, vcc_lo, v2, v11
	s_wait_alu 0xfffd
	v_add_co_ci_u32_e32 v2, vcc_lo, v6, v12, vcc_lo
	s_wait_alu 0xfffd
	v_add_co_ci_u32_e32 v6, vcc_lo, 0, v14, vcc_lo
	s_delay_alu instid0(VALU_DEP_2) | instskip(SKIP_1) | instid1(VALU_DEP_2)
	v_add_co_u32 v2, vcc_lo, v2, v13
	s_wait_alu 0xfffd
	v_add_co_ci_u32_e32 v6, vcc_lo, 0, v6, vcc_lo
	s_delay_alu instid0(VALU_DEP_2) | instskip(SKIP_1) | instid1(VALU_DEP_3)
	v_mul_lo_u32 v11, s19, v2
	v_mad_co_u64_u32 v[9:10], null, s18, v2, 0
	v_mul_lo_u32 v12, s18, v6
	s_delay_alu instid0(VALU_DEP_2) | instskip(NEXT) | instid1(VALU_DEP_2)
	v_sub_co_u32 v9, vcc_lo, v7, v9
	v_add3_u32 v10, v10, v12, v11
	s_delay_alu instid0(VALU_DEP_1) | instskip(SKIP_1) | instid1(VALU_DEP_1)
	v_sub_nc_u32_e32 v11, v8, v10
	s_wait_alu 0xfffd
	v_subrev_co_ci_u32_e64 v11, s2, s19, v11, vcc_lo
	v_add_co_u32 v12, s2, v2, 2
	s_wait_alu 0xf1ff
	v_add_co_ci_u32_e64 v13, s2, 0, v6, s2
	v_sub_co_u32 v14, s2, v9, s18
	v_sub_co_ci_u32_e32 v10, vcc_lo, v8, v10, vcc_lo
	s_wait_alu 0xf1ff
	v_subrev_co_ci_u32_e64 v11, s2, 0, v11, s2
	s_delay_alu instid0(VALU_DEP_3) | instskip(NEXT) | instid1(VALU_DEP_3)
	v_cmp_le_u32_e32 vcc_lo, s18, v14
	v_cmp_eq_u32_e64 s2, s19, v10
	s_wait_alu 0xfffd
	v_cndmask_b32_e64 v14, 0, -1, vcc_lo
	v_cmp_le_u32_e32 vcc_lo, s19, v11
	s_wait_alu 0xfffd
	v_cndmask_b32_e64 v15, 0, -1, vcc_lo
	v_cmp_le_u32_e32 vcc_lo, s18, v9
	;; [unrolled: 3-line block ×3, first 2 shown]
	s_wait_alu 0xfffd
	v_cndmask_b32_e64 v16, 0, -1, vcc_lo
	v_cmp_eq_u32_e32 vcc_lo, s19, v11
	s_wait_alu 0xf1ff
	s_delay_alu instid0(VALU_DEP_2)
	v_cndmask_b32_e64 v9, v16, v9, s2
	s_wait_alu 0xfffd
	v_cndmask_b32_e32 v11, v15, v14, vcc_lo
	v_add_co_u32 v14, vcc_lo, v2, 1
	s_wait_alu 0xfffd
	v_add_co_ci_u32_e32 v15, vcc_lo, 0, v6, vcc_lo
	s_delay_alu instid0(VALU_DEP_3) | instskip(SKIP_1) | instid1(VALU_DEP_2)
	v_cmp_ne_u32_e32 vcc_lo, 0, v11
	s_wait_alu 0xfffd
	v_dual_cndmask_b32 v10, v15, v13 :: v_dual_cndmask_b32 v11, v14, v12
	v_cmp_ne_u32_e32 vcc_lo, 0, v9
	s_wait_alu 0xfffd
	s_delay_alu instid0(VALU_DEP_2) | instskip(NEXT) | instid1(VALU_DEP_3)
	v_cndmask_b32_e32 v10, v6, v10, vcc_lo
	v_cndmask_b32_e32 v9, v2, v11, vcc_lo
.LBB0_4:                                ;   in Loop: Header=BB0_2 Depth=1
	s_wait_alu 0xfffe
	s_and_not1_saveexec_b32 s2, s20
	s_cbranch_execz .LBB0_6
; %bb.5:                                ;   in Loop: Header=BB0_2 Depth=1
	v_cvt_f32_u32_e32 v2, s18
	s_sub_co_i32 s20, 0, s18
	s_delay_alu instid0(VALU_DEP_1) | instskip(NEXT) | instid1(TRANS32_DEP_1)
	v_rcp_iflag_f32_e32 v2, v2
	v_mul_f32_e32 v2, 0x4f7ffffe, v2
	s_delay_alu instid0(VALU_DEP_1) | instskip(SKIP_1) | instid1(VALU_DEP_1)
	v_cvt_u32_f32_e32 v2, v2
	s_wait_alu 0xfffe
	v_mul_lo_u32 v6, s20, v2
	s_delay_alu instid0(VALU_DEP_1) | instskip(NEXT) | instid1(VALU_DEP_1)
	v_mul_hi_u32 v6, v2, v6
	v_add_nc_u32_e32 v2, v2, v6
	s_delay_alu instid0(VALU_DEP_1) | instskip(NEXT) | instid1(VALU_DEP_1)
	v_mul_hi_u32 v2, v7, v2
	v_mul_lo_u32 v6, v2, s18
	v_add_nc_u32_e32 v9, 1, v2
	s_delay_alu instid0(VALU_DEP_2) | instskip(NEXT) | instid1(VALU_DEP_1)
	v_sub_nc_u32_e32 v6, v7, v6
	v_subrev_nc_u32_e32 v10, s18, v6
	v_cmp_le_u32_e32 vcc_lo, s18, v6
	s_wait_alu 0xfffd
	s_delay_alu instid0(VALU_DEP_2) | instskip(SKIP_2) | instid1(VALU_DEP_3)
	v_cndmask_b32_e32 v6, v6, v10, vcc_lo
	v_mov_b32_e32 v10, v5
	v_cndmask_b32_e32 v2, v2, v9, vcc_lo
	v_cmp_le_u32_e32 vcc_lo, s18, v6
	s_delay_alu instid0(VALU_DEP_2) | instskip(SKIP_1) | instid1(VALU_DEP_1)
	v_add_nc_u32_e32 v9, 1, v2
	s_wait_alu 0xfffd
	v_cndmask_b32_e32 v9, v2, v9, vcc_lo
.LBB0_6:                                ;   in Loop: Header=BB0_2 Depth=1
	s_wait_alu 0xfffe
	s_or_b32 exec_lo, exec_lo, s2
	s_load_b64 s[20:21], s[12:13], 0x0
	v_mul_lo_u32 v2, v10, s18
	v_mul_lo_u32 v6, v9, s19
	v_mad_co_u64_u32 v[11:12], null, v9, s18, 0
	s_add_nc_u64 s[14:15], s[14:15], 1
	s_add_nc_u64 s[12:13], s[12:13], 8
	s_wait_alu 0xfffe
	v_cmp_ge_u64_e64 s2, s[14:15], s[6:7]
	s_add_nc_u64 s[16:17], s[16:17], 8
	s_delay_alu instid0(VALU_DEP_2) | instskip(NEXT) | instid1(VALU_DEP_3)
	v_add3_u32 v2, v12, v6, v2
	v_sub_co_u32 v6, vcc_lo, v7, v11
	s_wait_alu 0xfffd
	s_delay_alu instid0(VALU_DEP_2) | instskip(SKIP_3) | instid1(VALU_DEP_2)
	v_sub_co_ci_u32_e32 v2, vcc_lo, v8, v2, vcc_lo
	s_and_b32 vcc_lo, exec_lo, s2
	s_wait_kmcnt 0x0
	v_mul_lo_u32 v7, s21, v6
	v_mul_lo_u32 v2, s20, v2
	v_mad_co_u64_u32 v[3:4], null, s20, v6, v[3:4]
	s_delay_alu instid0(VALU_DEP_1)
	v_add3_u32 v4, v7, v4, v2
	s_wait_alu 0xfffe
	s_cbranch_vccnz .LBB0_8
; %bb.7:                                ;   in Loop: Header=BB0_2 Depth=1
	v_dual_mov_b32 v7, v9 :: v_dual_mov_b32 v8, v10
	s_branch .LBB0_2
.LBB0_8:
	s_lshl_b64 s[2:3], s[6:7], 3
	v_mul_hi_u32 v2, 0xaaaaaaab, v1
	s_wait_alu 0xfffe
	s_add_nc_u64 s[2:3], s[10:11], s[2:3]
	s_load_b64 s[0:1], s[0:1], 0x20
	s_load_b64 s[2:3], s[2:3], 0x0
	v_mul_hi_u32 v5, 0x3e0f83f, v0
	s_delay_alu instid0(VALU_DEP_2) | instskip(NEXT) | instid1(VALU_DEP_2)
	v_lshrrev_b32_e32 v2, 1, v2
	v_mul_u32_u24_e32 v5, 0x42, v5
	s_delay_alu instid0(VALU_DEP_2) | instskip(NEXT) | instid1(VALU_DEP_2)
	v_lshl_add_u32 v6, v2, 1, v2
	v_sub_nc_u32_e32 v8, v0, v5
	s_delay_alu instid0(VALU_DEP_2)
	v_sub_nc_u32_e32 v0, v1, v6
	s_wait_kmcnt 0x0
	v_cmp_gt_u64_e32 vcc_lo, s[0:1], v[9:10]
	v_mul_lo_u32 v7, s2, v10
	v_mul_lo_u32 v11, s3, v9
	v_mad_co_u64_u32 v[2:3], null, s2, v9, v[3:4]
	v_cmp_le_u64_e64 s0, s[0:1], v[9:10]
	v_add_nc_u32_e32 v14, 0x42, v8
	v_add_nc_u32_e32 v12, 0x84, v8
	s_delay_alu instid0(VALU_DEP_4) | instskip(NEXT) | instid1(VALU_DEP_4)
	v_add3_u32 v3, v11, v3, v7
	s_and_saveexec_b32 s1, s0
	s_wait_alu 0xfffe
	s_xor_b32 s0, exec_lo, s1
; %bb.9:
	v_add_nc_u32_e32 v14, 0x42, v8
	v_add_nc_u32_e32 v12, 0x84, v8
; %bb.10:
	s_wait_alu 0xfffe
	s_or_saveexec_b32 s1, s0
	v_mul_u32_u24_e32 v0, 0x4a5, v0
	v_lshlrev_b64_e32 v[10:11], 2, v[2:3]
	v_lshlrev_b32_e32 v13, 2, v8
	s_delay_alu instid0(VALU_DEP_3)
	v_lshlrev_b32_e32 v40, 2, v0
	s_wait_alu 0xfffe
	s_xor_b32 exec_lo, exec_lo, s1
	s_cbranch_execz .LBB0_12
; %bb.11:
	v_mov_b32_e32 v9, 0
	v_add_co_u32 v2, s0, s8, v10
	s_wait_alu 0xf1ff
	v_add_co_ci_u32_e64 v3, s0, s9, v11, s0
	s_delay_alu instid0(VALU_DEP_3) | instskip(NEXT) | instid1(VALU_DEP_1)
	v_lshlrev_b64_e32 v[0:1], 2, v[8:9]
	v_add_co_u32 v0, s0, v2, v0
	s_wait_alu 0xf1ff
	s_delay_alu instid0(VALU_DEP_2)
	v_add_co_ci_u32_e64 v1, s0, v3, v1, s0
	s_clause 0x11
	global_load_b32 v2, v[0:1], off
	global_load_b32 v3, v[0:1], off offset:264
	global_load_b32 v4, v[0:1], off offset:528
	;; [unrolled: 1-line block ×17, first 2 shown]
	v_add3_u32 v1, 0, v40, v13
	s_delay_alu instid0(VALU_DEP_1)
	v_add_nc_u32_e32 v26, 0x800, v1
	v_add_nc_u32_e32 v25, 0x400, v1
	;; [unrolled: 1-line block ×4, first 2 shown]
	s_wait_loadcnt 0x10
	ds_store_2addr_b32 v1, v2, v3 offset1:66
	s_wait_loadcnt 0xe
	ds_store_2addr_b32 v1, v4, v5 offset0:132 offset1:198
	s_wait_loadcnt 0xc
	ds_store_2addr_b32 v25, v6, v7 offset0:8 offset1:74
	;; [unrolled: 2-line block ×8, first 2 shown]
.LBB0_12:
	s_or_b32 exec_lo, exec_lo, s1
	v_add_nc_u32_e32 v0, 0, v13
	global_wb scope:SCOPE_SE
	s_wait_dscnt 0x0
	s_barrier_signal -1
	s_barrier_wait -1
	global_inv scope:SCOPE_SE
	v_add_nc_u32_e32 v39, v0, v40
	v_add_nc_u32_e32 v38, 0, v40
	v_mul_u32_u24_e32 v15, 6, v8
	v_mul_i32_i24_e32 v34, 6, v14
	v_cmp_gt_u32_e64 s0, 42, v8
	v_add_nc_u32_e32 v0, 0x400, v39
	v_add_nc_u32_e32 v9, 0x600, v39
	;; [unrolled: 1-line block ×4, first 2 shown]
	ds_load_2addr_b32 v[4:5], v39 offset0:66 offset1:132
	ds_load_2addr_b32 v[6:7], v0 offset0:74 offset1:140
	;; [unrolled: 1-line block ×5, first 2 shown]
	ds_load_b32 v9, v39 offset:4488
	v_add_nc_u32_e32 v3, 0x200, v39
	v_add_nc_u32_e32 v2, 0x800, v39
	;; [unrolled: 1-line block ×4, first 2 shown]
	ds_load_2addr_b32 v[27:28], v3 offset0:70 offset1:136
	ds_load_2addr_b32 v[29:30], v2 offset0:82 offset1:148
	ds_load_b32 v33, v37
	ds_load_2addr_b32 v[31:32], v36 offset0:94 offset1:160
	v_lshl_add_u32 v41, v15, 2, v38
	global_wb scope:SCOPE_SE
	s_wait_dscnt 0x0
	s_barrier_signal -1
	s_barrier_wait -1
	global_inv scope:SCOPE_SE
	v_pk_add_f16 v15, v5, v22
	v_pk_add_f16 v16, v6, v23
	;; [unrolled: 1-line block ×4, first 2 shown]
	v_pk_add_f16 v20, v23, v9 neg_lo:[0,1] neg_hi:[0,1]
	v_pk_add_f16 v18, v22, v26 neg_lo:[0,1] neg_hi:[0,1]
	v_pk_add_f16 v26, v15, v26
	v_pk_fma_f16 v6, v19, 0.5, v6 op_sel_hi:[1,0,1] neg_lo:[1,0,0] neg_hi:[1,0,0]
	v_pk_fma_f16 v5, v17, 0.5, v5 op_sel_hi:[1,0,1] neg_lo:[1,0,0] neg_hi:[1,0,0]
	v_pk_add_f16 v9, v16, v9
	v_pk_mul_f16 v16, 0x3aee, v18 op_sel_hi:[0,1]
	v_pk_add_f16 v46, v29, v31
	v_pk_fma_f16 v17, 0x3aee, v20, v6 op_sel:[0,0,1] op_sel_hi:[0,1,0] neg_lo:[0,1,0] neg_hi:[0,1,0]
	v_pk_fma_f16 v6, 0x3aee, v20, v6 op_sel:[0,0,1] op_sel_hi:[0,1,0]
	v_pk_add_f16 v15, v26, v9
	v_pk_add_f16 v18, v26, v9 neg_lo:[0,1] neg_hi:[0,1]
	v_pk_add_f16 v20, v5, v16 op_sel:[0,1] op_sel_hi:[1,0] neg_lo:[0,1] neg_hi:[0,1]
	v_lshrrev_b32_e32 v19, 16, v17
	v_lshrrev_b32_e32 v43, 16, v6
	v_pk_mul_f16 v44, v6, 0.5 op_sel_hi:[1,0]
	v_pk_add_f16 v5, v5, v16 op_sel:[0,1] op_sel_hi:[1,0]
	v_pk_add_f16 v42, v33, v7
	v_mul_f16_e32 v9, 0.5, v19
	v_mul_f16_e32 v26, 0xbaee, v43
	v_pk_fma_f16 v43, 0xbaee3aee, v17, v44 op_sel:[0,0,1] op_sel_hi:[1,1,0] neg_lo:[0,0,1] neg_hi:[0,0,1]
	v_pk_fma_f16 v16, 0xbaee3aee, v17, v44 op_sel:[0,0,1] op_sel_hi:[1,1,0]
	v_pk_add_f16 v45, v27, v29
	v_fma_f16 v6, v6, 0x3aee, -v9
	v_bfi_b32 v9, 0xffff, v20, v5
	v_lshrrev_b32_e32 v47, 16, v20
	v_fmac_f16_e32 v26, 0.5, v17
	v_bfi_b32 v48, 0xffff, v16, v43
	v_bfi_b32 v49, 0xffff, v6, v43
	v_add_f16_e32 v17, v20, v6
	v_sub_f16_e32 v19, v5, v16
	v_add_f16_e32 v44, v47, v26
	v_pk_add_f16 v16, v5, v48
	v_pk_add_f16 v20, v9, v49 neg_lo:[0,1] neg_hi:[0,1]
	v_pk_fma_f16 v9, v46, 0.5, v27 op_sel_hi:[1,0,1] neg_lo:[1,0,0] neg_hi:[1,0,0]
	v_pk_add_f16 v27, v29, v31 neg_lo:[0,1] neg_hi:[0,1]
	v_sub_f16_e32 v43, v47, v26
	v_pk_add_f16 v5, v42, v24
	v_lshl_add_u32 v26, v34, 2, v38
	v_pk_add_f16 v34, v7, v24
	v_pk_fma_f16 v42, 0x3aee, v27, v9 op_sel:[0,0,1] op_sel_hi:[0,1,0]
	v_pk_fma_f16 v9, 0x3aee, v27, v9 op_sel:[0,0,1] op_sel_hi:[0,1,0] neg_lo:[0,1,0] neg_hi:[0,1,0]
	v_pk_add_f16 v7, v7, v24 neg_lo:[0,1] neg_hi:[0,1]
	v_pk_add_f16 v6, v45, v31
	v_pk_fma_f16 v24, v34, 0.5, v33 op_sel_hi:[1,0,1] neg_lo:[1,0,0] neg_hi:[1,0,0]
	v_lshrrev_b32_e32 v33, 16, v42
	v_bfi_b32 v27, 0xffff, v42, v9
	v_pk_mul_f16 v7, 0x3aee, v7 op_sel_hi:[0,1]
	v_mul_f16_e32 v34, 0x3aee, v9
	v_pk_add_f16 v48, v30, v32
	v_mul_f16_e32 v46, 0xbaee, v33
	v_pk_mul_f16 v42, v27, 0.5 op_sel_hi:[1,0]
	v_pk_add_f16 v45, v24, v7 op_sel:[0,1] op_sel_hi:[1,0] neg_lo:[0,1] neg_hi:[0,1]
	v_pk_add_f16 v7, v24, v7 op_sel:[0,1] op_sel_hi:[1,0]
	v_pk_add_f16 v22, v4, v21
	v_fmac_f16_e32 v46, 0.5, v9
	v_pk_fma_f16 v24, 0xbaee3aee, v27, v42 op_sel:[0,0,1] op_sel_hi:[1,1,0] neg_lo:[0,0,1] neg_hi:[0,0,1]
	v_pk_add_f16 v23, v28, v30
	v_bfi_b32 v9, 0xffff, v45, v7
	v_fmac_f16_e32 v34, 0.5, v33
	v_lshrrev_b32_e32 v27, 16, v45
	v_lshrrev_b32_e32 v42, 16, v24
	;; [unrolled: 1-line block ×3, first 2 shown]
	v_pk_add_f16 v9, v9, v24
	v_pack_b32_f16 v24, v46, v24
	v_pk_fma_f16 v28, v48, 0.5, v28 op_sel_hi:[1,0,1] neg_lo:[1,0,0] neg_hi:[1,0,0]
	v_pk_add_f16 v30, v30, v32 neg_lo:[0,1] neg_hi:[0,1]
	v_pk_add_f16 v22, v22, v25
	v_pk_add_f16 v31, v5, v6
	v_add_f16_e32 v33, v7, v34
	v_add_f16_e32 v27, v27, v46
	v_sub_f16_e32 v7, v7, v34
	v_sub_f16_e32 v34, v47, v42
	v_pk_add_f16 v5, v5, v6 neg_lo:[0,1] neg_hi:[0,1]
	v_pk_add_f16 v6, v45, v24 op_sel:[1,0] op_sel_hi:[0,1] neg_lo:[0,1] neg_hi:[0,1]
	v_pk_add_f16 v24, v21, v25
	v_pk_add_f16 v21, v21, v25 neg_lo:[0,1] neg_hi:[0,1]
	v_pk_fma_f16 v25, 0x3aee, v30, v28 op_sel:[0,0,1] op_sel_hi:[0,1,0]
	v_pk_fma_f16 v28, 0x3aee, v30, v28 op_sel:[0,0,1] op_sel_hi:[0,1,0] neg_lo:[0,1,0] neg_hi:[0,1,0]
	v_pack_b32_f16 v27, v33, v27
	v_alignbit_b32 v30, v34, v6, 16
	v_pack_b32_f16 v6, v7, v6
	v_pk_fma_f16 v4, v24, 0.5, v4 op_sel_hi:[1,0,1] neg_lo:[1,0,0] neg_hi:[1,0,0]
	v_pk_mul_f16 v7, 0x3aee, v21 op_sel_hi:[0,1]
	v_bfi_b32 v21, 0xffff, v25, v28
	v_lshrrev_b32_e32 v24, 16, v25
	ds_store_2addr_b32 v41, v31, v27 offset1:1
	ds_store_2addr_b32 v41, v9, v5 offset0:2 offset1:3
	ds_store_2addr_b32 v41, v6, v30 offset0:4 offset1:5
	v_mul_f16_e32 v25, 0x3aee, v28
	v_pk_add_f16 v6, v4, v7 op_sel:[0,1] op_sel_hi:[1,0] neg_lo:[0,1] neg_hi:[0,1]
	v_pk_mul_f16 v5, v21, 0.5 op_sel_hi:[1,0]
	v_mul_f16_e32 v9, 0xbaee, v24
	v_pk_add_f16 v4, v4, v7 op_sel:[0,1] op_sel_hi:[1,0]
	v_fmac_f16_e32 v25, 0.5, v24
	v_lshrrev_b32_e32 v7, 16, v6
	v_pk_fma_f16 v5, 0xbaee3aee, v21, v5 op_sel:[0,0,1] op_sel_hi:[1,1,0] neg_lo:[0,0,1] neg_hi:[0,0,1]
	v_fmac_f16_e32 v9, 0.5, v28
	v_lshrrev_b32_e32 v27, 16, v4
	v_bfi_b32 v21, 0xffff, v6, v4
	v_pk_add_f16 v23, v23, v32
	v_lshrrev_b32_e32 v24, 16, v5
	v_pack_b32_f16 v28, v9, v5
	v_add_f16_e32 v30, v4, v25
	v_add_f16_e32 v7, v7, v9
	v_sub_f16_e32 v4, v4, v25
	v_sub_f16_e32 v9, v27, v24
	v_pk_add_f16 v6, v6, v28 op_sel:[1,0] op_sel_hi:[0,1] neg_lo:[0,1] neg_hi:[0,1]
	v_pk_add_f16 v5, v21, v5
	v_mul_i32_i24_e32 v21, 6, v12
	v_pk_add_f16 v29, v22, v23
	v_pack_b32_f16 v7, v30, v7
	v_pk_add_f16 v22, v22, v23 neg_lo:[0,1] neg_hi:[0,1]
	v_alignbit_b32 v23, v9, v6, 16
	v_pack_b32_f16 v4, v4, v6
	v_lshl_add_u32 v21, v21, 2, v38
	v_pack_b32_f16 v24, v16, v44
	v_bfi_b32 v25, 0xffff, v17, v16
	v_pack_b32_f16 v27, v19, v43
	ds_store_2addr_b32 v26, v29, v7 offset1:1
	ds_store_2addr_b32 v26, v5, v22 offset0:2 offset1:3
	ds_store_2addr_b32 v26, v4, v23 offset0:4 offset1:5
	ds_store_2addr_b32 v21, v15, v24 offset1:1
	ds_store_2addr_b32 v21, v25, v18 offset0:2 offset1:3
	ds_store_2addr_b32 v21, v27, v20 offset0:4 offset1:5
	global_wb scope:SCOPE_SE
	s_wait_dscnt 0x0
	s_barrier_signal -1
	s_barrier_wait -1
	global_inv scope:SCOPE_SE
	ds_load_b32 v49, v37
	ds_load_2addr_b32 v[33:34], v39 offset0:108 offset1:216
	ds_load_2addr_b32 v[31:32], v0 offset0:68 offset1:176
	;; [unrolled: 1-line block ×5, first 2 shown]
	v_lshrrev_b32_e32 v42, 16, v6
	v_lshlrev_b32_e32 v41, 2, v14
                                        ; implicit-def: $vgpr48
                                        ; implicit-def: $vgpr24
                                        ; implicit-def: $vgpr47
                                        ; implicit-def: $vgpr46
                                        ; implicit-def: $vgpr22
                                        ; implicit-def: $vgpr45
	s_and_saveexec_b32 s1, s0
	s_cbranch_execz .LBB0_14
; %bb.13:
	s_delay_alu instid0(VALU_DEP_1)
	v_add3_u32 v4, 0, v41, v40
	ds_load_2addr_b32 v[15:16], v3 offset0:46 offset1:154
	v_add_nc_u32_e32 v3, 0x1000, v39
	ds_load_2addr_b32 v[19:20], v2 offset0:94 offset1:202
	ds_load_2addr_b32 v[21:22], v1 offset0:54 offset1:162
	ds_load_b32 v42, v4
	ds_load_2addr_b32 v[23:24], v3 offset0:14 offset1:122
	ds_load_2addr_b32 v[17:18], v0 offset0:134 offset1:242
	s_wait_dscnt 0x4
	v_lshrrev_b32_e32 v43, 16, v19
	v_lshrrev_b32_e32 v44, 16, v16
	s_wait_dscnt 0x3
	v_lshrrev_b32_e32 v45, 16, v21
	v_lshrrev_b32_e32 v46, 16, v22
	s_wait_dscnt 0x2
	v_lshrrev_b32_e32 v9, 16, v42
	s_wait_dscnt 0x1
	v_lshrrev_b32_e32 v47, 16, v23
	v_lshrrev_b32_e32 v48, 16, v24
	s_wait_dscnt 0x0
	v_bfi_b32 v16, 0xffff, v16, v17
.LBB0_14:
	s_wait_alu 0xfffe
	s_or_b32 exec_lo, exec_lo, s1
	v_and_b32_e32 v0, 0xff, v8
	s_wait_dscnt 0x4
	v_lshrrev_b32_e32 v52, 16, v33
	s_wait_dscnt 0x0
	v_lshrrev_b32_e32 v50, 16, v25
	v_lshrrev_b32_e32 v51, 16, v26
	;; [unrolled: 1-line block ×3, first 2 shown]
	v_mul_lo_u16 v0, 0xab, v0
	v_lshrrev_b32_e32 v56, 16, v31
	v_lshrrev_b32_e32 v57, 16, v32
	v_lshrrev_b32_e32 v58, 16, v29
	v_lshrrev_b32_e32 v60, 16, v30
	v_lshrrev_b16 v53, 10, v0
	v_lshrrev_b32_e32 v61, 16, v27
	v_lshrrev_b32_e32 v62, 16, v28
	s_delay_alu instid0(VALU_DEP_3) | instskip(SKIP_1) | instid1(VALU_DEP_2)
	v_mul_lo_u16 v0, v53, 6
	v_and_b32_e32 v53, 0xffff, v53
	v_sub_nc_u16 v0, v8, v0
	s_delay_alu instid0(VALU_DEP_2) | instskip(NEXT) | instid1(VALU_DEP_2)
	v_mad_u32_u24 v53, 0x108, v53, 0
	v_and_b32_e32 v54, 0xff, v0
	s_delay_alu instid0(VALU_DEP_1) | instskip(SKIP_2) | instid1(VALU_DEP_3)
	v_mul_u32_u24_e32 v0, 10, v54
	v_lshlrev_b32_e32 v59, 2, v54
	v_lshrrev_b32_e32 v54, 16, v49
	v_lshlrev_b32_e32 v35, 2, v0
	s_delay_alu instid0(VALU_DEP_3)
	v_add3_u32 v53, v53, v59, v40
	s_clause 0x2
	global_load_b128 v[0:3], v35, s[4:5]
	global_load_b128 v[4:7], v35, s[4:5] offset:16
	global_load_b64 v[35:36], v35, s[4:5] offset:32
	global_wb scope:SCOPE_SE
	s_wait_loadcnt 0x0
	s_barrier_signal -1
	s_barrier_wait -1
	global_inv scope:SCOPE_SE
	v_lshrrev_b32_e32 v59, 16, v0
	v_lshrrev_b32_e32 v63, 16, v1
	v_lshrrev_b32_e32 v64, 16, v2
	v_lshrrev_b32_e32 v65, 16, v3
	v_lshrrev_b32_e32 v66, 16, v4
	v_lshrrev_b32_e32 v67, 16, v5
	v_lshrrev_b32_e32 v68, 16, v6
	v_lshrrev_b32_e32 v69, 16, v7
	v_lshrrev_b32_e32 v70, 16, v35
	v_lshrrev_b32_e32 v71, 16, v36
	v_mul_f16_e32 v72, v59, v52
	v_mul_f16_e32 v59, v59, v33
	;; [unrolled: 1-line block ×18, first 2 shown]
	v_fma_f16 v33, v0, v33, -v72
	v_fmac_f16_e32 v59, v0, v52
	v_mul_f16_e32 v71, v26, v71
	v_mul_f16_e32 v70, v25, v70
	v_fma_f16 v0, v1, v34, -v73
	v_fmac_f16_e32 v63, v1, v55
	v_fma_f16 v1, v2, v31, -v74
	v_fmac_f16_e32 v64, v2, v56
	;; [unrolled: 2-line block ×7, first 2 shown]
	v_fma_f16 v7, v25, v35, -v80
	v_fma_f16 v25, v26, v36, -v81
	v_add_f16_e32 v26, v33, v49
	v_add_f16_e32 v27, v59, v54
	v_fmac_f16_e32 v71, v51, v36
	v_add_f16_e32 v32, v0, v7
	v_sub_f16_e32 v34, v0, v7
	v_add_f16_e32 v0, v26, v0
	v_add_f16_e32 v26, v27, v63
	v_fmac_f16_e32 v70, v50, v35
	v_sub_f16_e32 v30, v33, v25
	v_sub_f16_e32 v31, v59, v71
	v_add_f16_e32 v36, v1, v6
	v_sub_f16_e32 v51, v1, v6
	v_add_f16_e32 v0, v0, v1
	v_add_f16_e32 v1, v26, v64
	;; [unrolled: 1-line block ×5, first 2 shown]
	v_sub_f16_e32 v35, v63, v70
	v_sub_f16_e32 v52, v64, v69
	;; [unrolled: 1-line block ×6, first 2 shown]
	v_mul_f16_e32 v27, 0xb853, v31
	v_mul_f16_e32 v63, 0xb853, v30
	;; [unrolled: 1-line block ×10, first 2 shown]
	v_add_f16_e32 v0, v0, v2
	v_add_f16_e32 v1, v1, v65
	;; [unrolled: 1-line block ×7, first 2 shown]
	v_mul_f16_e32 v78, 0xbb47, v35
	v_mul_f16_e32 v79, 0xbb47, v34
	;; [unrolled: 1-line block ×40, first 2 shown]
	v_fma_f16 v26, v28, 0x3abb, -v27
	v_fmamk_f16 v64, v29, 0x3abb, v63
	v_fmac_f16_e32 v27, 0x3abb, v28
	v_fma_f16 v63, v29, 0x3abb, -v63
	v_fma_f16 v110, v28, 0x36a6, -v72
	v_fmamk_f16 v111, v29, 0x36a6, v73
	v_fmac_f16_e32 v72, 0x36a6, v28
	v_fma_f16 v73, v29, 0x36a6, -v73
	;; [unrolled: 4-line block ×3, first 2 shown]
	v_fmac_f16_e32 v76, 0xb93d, v28
	v_fma_f16 v116, v28, 0xbbad, -v31
	v_fmac_f16_e32 v31, 0xbbad, v28
	v_fma_f16 v75, v29, 0xb08e, -v75
	v_fmamk_f16 v115, v29, 0xb93d, v77
	v_fma_f16 v77, v29, 0xb93d, -v77
	v_fmamk_f16 v117, v29, 0xbbad, v30
	v_fma_f16 v28, v29, 0xbbad, -v30
	v_add_f16_e32 v0, v0, v3
	v_add_f16_e32 v1, v1, v66
	v_fma_f16 v29, v32, 0x36a6, -v78
	v_fmamk_f16 v30, v33, 0x36a6, v79
	v_fmac_f16_e32 v78, 0x36a6, v32
	v_fma_f16 v79, v33, 0x36a6, -v79
	v_fma_f16 v118, v32, 0xb93d, -v80
	v_fmamk_f16 v119, v33, 0xb93d, v81
	v_fmac_f16_e32 v80, 0xb93d, v32
	v_fma_f16 v81, v33, 0xb93d, -v81
	;; [unrolled: 4-line block ×7, first 2 shown]
	v_fma_f16 v128, v36, 0x36a6, -v90
	v_fma_f16 v129, 0x36a6, v50, v91
	v_fmac_f16_e32 v90, 0x36a6, v36
	v_fma_f16 v91, v50, 0x36a6, -v91
	v_fma_f16 v130, v36, 0x3abb, -v92
	v_fma_f16 v131, 0x3abb, v50, v93
	v_fmac_f16_e32 v92, 0x3abb, v36
	v_fma_f16 v93, v50, 0x3abb, -v93
	;; [unrolled: 4-line block ×3, first 2 shown]
	v_fma_f16 v50, v55, 0xb93d, -v94
	v_fmac_f16_e32 v94, 0xb93d, v55
	v_fma_f16 v51, v55, 0xb08e, -v95
	v_fmac_f16_e32 v95, 0xb08e, v55
	;; [unrolled: 2-line block ×5, first 2 shown]
	v_fmamk_f16 v55, v58, 0xb93d, v98
	v_fma_f16 v98, v58, 0xb93d, -v98
	v_fma_f16 v137, 0xb08e, v58, v99
	v_fma_f16 v99, v58, 0xb08e, -v99
	v_fma_f16 v138, 0x3abb, v58, v100
	;; [unrolled: 2-line block ×4, first 2 shown]
	v_fma_f16 v57, v58, 0x36a6, -v57
	v_fma_f16 v58, v60, 0xbbad, -v102
	v_fmac_f16_e32 v102, 0xbbad, v60
	v_fma_f16 v141, v60, 0x3abb, -v103
	v_fmac_f16_e32 v103, 0x3abb, v60
	;; [unrolled: 2-line block ×5, first 2 shown]
	v_fmamk_f16 v60, v62, 0xbbad, v106
	v_fma_f16 v106, v62, 0xbbad, -v106
	v_fma_f16 v145, 0x3abb, v62, v107
	v_fma_f16 v107, v62, 0x3abb, -v107
	v_fma_f16 v146, 0xb93d, v62, v108
	;; [unrolled: 2-line block ×4, first 2 shown]
	v_fma_f16 v61, v62, 0xb08e, -v61
	v_add_f16_e32 v2, v26, v49
	v_add_f16_e32 v26, v27, v49
	;; [unrolled: 1-line block ×52, first 2 shown]
	v_add_f16_e64 v33, v128, v62
	v_add_f16_e64 v34, v129, v63
	v_add_f16_e32 v35, v90, v64
	v_add_f16_e32 v49, v91, v65
	v_add_f16_e64 v54, v130, v66
	v_add_f16_e64 v62, v131, v72
	v_add_f16_e32 v63, v92, v73
	v_add_f16_e32 v64, v93, v74
	;; [unrolled: 4-line block ×3, first 2 shown]
	v_add_f16_e32 v0, v0, v6
	v_add_f16_e32 v1, v1, v69
	;; [unrolled: 1-line block ×6, first 2 shown]
	v_add_f16_e64 v27, v137, v29
	v_add_f16_e32 v29, v95, v30
	v_add_f16_e32 v30, v99, v32
	v_add_f16_e64 v32, v134, v33
	v_add_f16_e64 v33, v138, v34
	v_add_f16_e32 v34, v96, v35
	v_add_f16_e32 v35, v100, v49
	v_add_f16_e64 v36, v135, v54
	;; [unrolled: 4-line block ×3, first 2 shown]
	v_add_f16_e64 v54, v140, v66
	v_add_f16_e32 v31, v56, v31
	v_add_f16_e32 v28, v57, v28
	;; [unrolled: 1-line block ×7, first 2 shown]
	v_add_f16_e64 v6, v141, v26
	v_add_f16_e64 v26, v145, v27
	v_add_f16_e32 v27, v103, v29
	v_add_f16_e32 v29, v107, v30
	v_add_f16_e64 v30, v142, v32
	v_add_f16_e64 v32, v146, v33
	v_add_f16_e32 v33, v104, v34
	v_add_f16_e32 v34, v108, v35
	;; [unrolled: 4-line block ×4, first 2 shown]
	v_add_f16_e32 v0, v0, v25
	v_add_f16_e32 v1, v1, v71
	;; [unrolled: 1-line block ×4, first 2 shown]
	v_pack_b32_f16 v2, v2, v3
	v_pack_b32_f16 v3, v6, v26
	;; [unrolled: 1-line block ×11, first 2 shown]
	ds_store_2addr_b32 v53, v3, v6 offset0:12 offset1:18
	ds_store_2addr_b32 v53, v7, v26 offset0:24 offset1:30
	ds_store_2addr_b32 v53, v28, v25 offset0:36 offset1:42
	ds_store_2addr_b32 v53, v30, v27 offset0:48 offset1:54
	ds_store_2addr_b32 v53, v0, v2 offset1:6
	ds_store_b32 v53, v4 offset:240
	s_and_saveexec_b32 s1, s0
	s_cbranch_execz .LBB0_16
; %bb.15:
	v_and_b32_e32 v0, 0xff, v14
	v_lshrrev_b32_e32 v29, 16, v15
	v_lshrrev_b32_e32 v31, 16, v18
	;; [unrolled: 1-line block ×4, first 2 shown]
	v_mul_lo_u16 v0, 0xab, v0
	s_delay_alu instid0(VALU_DEP_1) | instskip(NEXT) | instid1(VALU_DEP_1)
	v_lshrrev_b16 v27, 10, v0
	v_mul_lo_u16 v0, v27, 6
	v_and_b32_e32 v27, 0xffff, v27
	s_delay_alu instid0(VALU_DEP_2) | instskip(NEXT) | instid1(VALU_DEP_2)
	v_sub_nc_u16 v0, v14, v0
	v_mad_u32_u24 v27, 0x108, v27, 0
	s_delay_alu instid0(VALU_DEP_2) | instskip(NEXT) | instid1(VALU_DEP_1)
	v_and_b32_e32 v28, 0xff, v0
	v_mul_u32_u24_e32 v0, 10, v28
	v_lshlrev_b32_e32 v28, 2, v28
	s_delay_alu instid0(VALU_DEP_2) | instskip(NEXT) | instid1(VALU_DEP_2)
	v_lshlrev_b32_e32 v25, 2, v0
	v_add3_u32 v27, v27, v28, v40
	s_clause 0x2
	global_load_b128 v[0:3], v25, s[4:5]
	global_load_b128 v[4:7], v25, s[4:5] offset:16
	global_load_b64 v[25:26], v25, s[4:5] offset:32
	s_wait_loadcnt 0x2
	v_lshrrev_b32_e32 v28, 16, v0
	v_lshrrev_b32_e32 v33, 16, v1
	s_wait_loadcnt 0x0
	v_lshrrev_b32_e32 v49, 16, v26
	v_lshrrev_b32_e32 v35, 16, v3
	v_lshrrev_b32_e32 v53, 16, v25
	v_mul_f16_e32 v55, v15, v28
	v_mul_f16_e32 v28, v29, v28
	;; [unrolled: 1-line block ×4, first 2 shown]
	v_lshrrev_b32_e32 v34, 16, v2
	v_lshrrev_b32_e32 v36, 16, v4
	;; [unrolled: 1-line block ×5, first 2 shown]
	v_mul_f16_e32 v56, v23, v53
	v_mul_f16_e32 v57, v16, v33
	v_mul_f16_e32 v33, v44, v33
	v_mul_f16_e32 v53, v47, v53
	v_mul_f16_e32 v61, v18, v35
	v_mul_f16_e32 v35, v31, v35
	v_fmac_f16_e32 v55, v29, v0
	v_fma_f16 v0, v15, v0, -v28
	v_fma_f16 v15, v24, v26, -v49
	v_mul_f16_e32 v58, v22, v52
	v_mul_f16_e32 v59, v17, v34
	;; [unrolled: 1-line block ×10, first 2 shown]
	v_fmac_f16_e32 v57, v44, v1
	v_fma_f16 v1, v16, v1, -v33
	v_fma_f16 v16, v23, v25, -v53
	v_fmac_f16_e32 v61, v31, v3
	v_fma_f16 v3, v18, v3, -v35
	v_sub_f16_e32 v18, v0, v15
	v_add_f16_e32 v28, v0, v15
	v_add_f16_e32 v0, v42, v0
	;; [unrolled: 1-line block ×3, first 2 shown]
	v_fmac_f16_e32 v54, v48, v26
	v_fmac_f16_e32 v56, v47, v25
	;; [unrolled: 1-line block ×4, first 2 shown]
	v_fma_f16 v2, v17, v2, -v34
	v_fma_f16 v7, v22, v7, -v52
	v_fmac_f16_e32 v60, v45, v6
	v_fma_f16 v6, v21, v6, -v51
	v_fmac_f16_e32 v62, v32, v5
	v_fmac_f16_e32 v63, v43, v4
	v_fma_f16 v4, v19, v4, -v36
	v_fma_f16 v5, v20, v5, -v50
	v_sub_f16_e32 v20, v1, v16
	v_add_f16_e32 v30, v1, v16
	v_add_f16_e32 v0, v0, v1
	;; [unrolled: 1-line block ×4, first 2 shown]
	v_sub_f16_e32 v29, v55, v54
	v_add_f16_e32 v19, v57, v56
	v_add_f16_e32 v21, v59, v58
	v_sub_f16_e32 v22, v2, v7
	v_add_f16_e32 v23, v61, v60
	v_sub_f16_e32 v24, v3, v6
	;; [unrolled: 2-line block ×3, first 2 shown]
	v_sub_f16_e32 v31, v57, v56
	v_sub_f16_e32 v33, v59, v58
	;; [unrolled: 1-line block ×4, first 2 shown]
	v_add_f16_e32 v0, v0, v2
	v_add_f16_e32 v1, v1, v59
	v_mul_f16_e32 v45, 0xbbad, v17
	v_mul_f16_e32 v50, 0xb482, v29
	;; [unrolled: 1-line block ×8, first 2 shown]
	v_add_f16_e32 v32, v2, v7
	v_add_f16_e32 v34, v3, v6
	;; [unrolled: 1-line block ×3, first 2 shown]
	v_mul_f16_e32 v46, 0x3abb, v19
	v_mul_f16_e32 v47, 0xb93d, v21
	;; [unrolled: 1-line block ×16, first 2 shown]
	v_add_f16_e32 v0, v0, v3
	v_add_f16_e32 v1, v1, v61
	v_mul_f16_e32 v70, 0x3beb, v31
	v_mul_f16_e32 v71, 0xb853, v33
	;; [unrolled: 1-line block ×20, first 2 shown]
	v_fmamk_f16 v44, v18, 0x3482, v45
	v_fmamk_f16 v102, v28, 0xbbad, v50
	v_fmac_f16_e32 v45, 0xb482, v18
	v_fma_f16 v18, v28, 0xbbad, -v50
	v_fmamk_f16 v50, v17, 0xb93d, v64
	v_fma_f16 v107, v28, 0xb93d, -v69
	v_fmamk_f16 v112, v17, 0xb08e, v74
	;; [unrolled: 2-line block ×3, first 2 shown]
	v_fma_f16 v127, v28, 0x36a6, -v89
	v_fma_f16 v2, v17, 0xb93d, -v64
	v_fmac_f16_e32 v69, 0xb93d, v28
	v_mul_f16_e32 v86, 0x3482, v22
	v_mul_f16_e32 v88, 0x3853, v26
	;; [unrolled: 1-line block ×6, first 2 shown]
	v_fmamk_f16 v57, v20, 0xb853, v46
	v_fmamk_f16 v99, v22, 0x3a0c, v47
	;; [unrolled: 1-line block ×8, first 2 shown]
	v_fmac_f16_e32 v46, 0x3853, v20
	v_fmac_f16_e32 v47, 0xba0c, v22
	;; [unrolled: 1-line block ×4, first 2 shown]
	v_fma_f16 v20, v30, 0x3abb, -v51
	v_fma_f16 v22, v32, 0xb93d, -v52
	;; [unrolled: 1-line block ×4, first 2 shown]
	v_fmamk_f16 v51, v19, 0xb08e, v65
	v_fmamk_f16 v52, v21, 0x3abb, v66
	;; [unrolled: 1-line block ×6, first 2 shown]
	v_fma_f16 v132, 0x3abb, v17, v94
	v_fma_f16 v59, v19, 0xb08e, -v65
	v_fma_f16 v64, v21, 0x3abb, -v66
	v_fma_f16 v65, v23, 0xbbad, -v67
	v_fma_f16 v66, v25, 0x36a6, -v68
	v_fma_f16 v67, v17, 0xb08e, -v74
	v_fma_f16 v68, v19, 0xbbad, -v75
	v_fma_f16 v75, v23, 0x3abb, -v77
	v_fmac_f16_e32 v79, 0xb08e, v28
	v_fma_f16 v77, v17, 0x36a6, -v84
	v_fmac_f16_e32 v89, 0x36a6, v28
	v_fma_f16 v137, v28, 0x3abb, -v29
	v_add_f16_e32 v0, v0, v4
	v_add_f16_e32 v1, v1, v63
	v_fma_f16 v108, v30, 0xb08e, -v70
	v_fma_f16 v109, v32, 0x3abb, -v71
	v_fma_f16 v110, v34, 0xbbad, -v72
	v_fma_f16 v111, v36, 0x36a6, -v73
	v_fmamk_f16 v114, v21, 0x36a6, v76
	v_fmamk_f16 v116, v25, 0xb93d, v78
	v_fma_f16 v118, v30, 0xbbad, -v80
	v_fma_f16 v119, v32, 0x36a6, -v81
	;; [unrolled: 1-line block ×4, first 2 shown]
	v_fmamk_f16 v123, v19, 0xb93d, v85
	v_fmamk_f16 v125, v23, 0xb08e, v87
	v_fma_f16 v128, v30, 0xb93d, -v90
	v_fma_f16 v129, v32, 0xbbad, -v91
	;; [unrolled: 1-line block ×8, first 2 shown]
	v_fmac_f16_e32 v70, 0xb08e, v30
	v_fmac_f16_e32 v71, 0x3abb, v32
	;; [unrolled: 1-line block ×4, first 2 shown]
	v_fma_f16 v74, v21, 0x36a6, -v76
	v_fma_f16 v76, v25, 0xb93d, -v78
	v_fmac_f16_e32 v80, 0xbbad, v30
	v_fmac_f16_e32 v81, 0x36a6, v32
	;; [unrolled: 1-line block ×4, first 2 shown]
	v_fma_f16 v78, v19, 0xb93d, -v85
	v_fma_f16 v85, v23, 0xb08e, -v87
	v_fmac_f16_e32 v90, 0xb93d, v30
	v_fmac_f16_e32 v91, 0xbbad, v32
	;; [unrolled: 1-line block ×4, first 2 shown]
	v_fma_f16 v17, v17, 0x3abb, -v94
	v_fmac_f16_e32 v29, 0x3abb, v28
	v_fmac_f16_e32 v31, 0x36a6, v30
	;; [unrolled: 1-line block ×5, first 2 shown]
	v_add_f16_e32 v28, v9, v44
	v_add_f16_e32 v30, v42, v102
	;; [unrolled: 1-line block ×12, first 2 shown]
	v_fmamk_f16 v124, v21, 0xbbad, v86
	v_fmamk_f16 v126, v25, 0x3abb, v88
	v_fma_f16 v133, 0x36a6, v19, v95
	v_fma_f16 v84, v21, 0xbbad, -v86
	v_fma_f16 v86, v25, 0x3abb, -v88
	v_add_f16_e64 v88, v9, v132
	v_add_f16_e32 v61, v9, v67
	v_add_f16_e32 v67, v42, v79
	;; [unrolled: 1-line block ×4, first 2 shown]
	v_add_f16_e64 v94, v42, v137
	v_add_f16_e32 v0, v0, v5
	v_add_f16_e32 v1, v1, v62
	v_fma_f16 v19, v19, 0x36a6, -v95
	v_add_f16_e32 v9, v9, v17
	v_add_f16_e32 v17, v42, v29
	;; [unrolled: 1-line block ×11, first 2 shown]
	v_add_f16_e64 v44, v128, v87
	v_add_f16_e32 v2, v59, v2
	v_add_f16_e32 v3, v70, v3
	v_fma_f16 v134, 0xb08e, v21, v96
	v_add_f16_e64 v45, v133, v88
	v_add_f16_e32 v4, v68, v61
	v_add_f16_e32 v50, v80, v67
	;; [unrolled: 1-line block ×4, first 2 shown]
	v_add_f16_e64 v46, v138, v94
	v_add_f16_e32 v0, v0, v6
	v_add_f16_e32 v1, v1, v60
	v_fma_f16 v21, v21, 0xb08e, -v96
	v_add_f16_e32 v9, v19, v9
	v_add_f16_e32 v17, v31, v17
	;; [unrolled: 1-line block ×10, first 2 shown]
	v_add_f16_e64 v34, v129, v44
	v_add_f16_e32 v20, v52, v20
	v_add_f16_e32 v2, v64, v2
	;; [unrolled: 1-line block ×3, first 2 shown]
	v_add_f16_e64 v36, v134, v45
	v_add_f16_e32 v4, v74, v4
	v_add_f16_e32 v5, v81, v50
	;; [unrolled: 1-line block ×4, first 2 shown]
	v_fma_f16 v135, 0xb93d, v23, v97
	v_add_f16_e64 v42, v139, v46
	v_add_f16_e32 v0, v0, v7
	v_add_f16_e32 v1, v1, v58
	v_fma_f16 v23, v23, 0xb93d, -v97
	v_add_f16_e32 v9, v21, v9
	v_add_f16_e32 v17, v33, v17
	;; [unrolled: 1-line block ×8, first 2 shown]
	v_add_f16_e64 v31, v130, v34
	v_add_f16_e32 v20, v53, v20
	v_add_f16_e32 v22, v110, v22
	;; [unrolled: 1-line block ×9, first 2 shown]
	v_fma_f16 v136, 0xbbad, v25, v98
	v_add_f16_e64 v32, v135, v36
	v_add_f16_e64 v33, v140, v42
	v_add_f16_e32 v0, v0, v16
	v_add_f16_e32 v1, v1, v56
	v_fma_f16 v25, v25, 0xbbad, -v98
	v_add_f16_e32 v9, v23, v9
	v_add_f16_e32 v17, v35, v17
	;; [unrolled: 1-line block ×7, first 2 shown]
	v_add_f16_e64 v29, v131, v31
	v_add_f16_e32 v20, v55, v20
	v_add_f16_e32 v22, v111, v22
	;; [unrolled: 1-line block ×10, first 2 shown]
	v_add_f16_e64 v30, v136, v32
	v_add_f16_e64 v31, v141, v33
	v_add_f16_e32 v0, v0, v15
	v_add_f16_e32 v1, v1, v54
	;; [unrolled: 1-line block ×4, first 2 shown]
	v_pack_b32_f16 v25, v29, v28
	v_pack_b32_f16 v24, v26, v24
	;; [unrolled: 1-line block ×11, first 2 shown]
	ds_store_2addr_b32 v27, v25, v24 offset0:12 offset1:18
	ds_store_2addr_b32 v27, v20, v18 offset0:24 offset1:30
	;; [unrolled: 1-line block ×4, first 2 shown]
	ds_store_2addr_b32 v27, v0, v16 offset1:6
	ds_store_b32 v27, v5 offset:240
.LBB0_16:
	s_wait_alu 0xfffe
	s_or_b32 exec_lo, exec_lo, s1
	v_dual_mov_b32 v9, 0 :: v_dual_and_b32 v0, 0xff, v12
	v_add_nc_u32_e32 v26, 0xc6, v8
	v_add_nc_u32_e32 v25, 0x108, v8
	;; [unrolled: 1-line block ×3, first 2 shown]
	s_delay_alu instid0(VALU_DEP_4)
	v_mul_lo_u16 v0, 0xf9, v0
	v_add_nc_u32_e32 v6, 0x210, v8
	v_and_b32_e32 v1, 0xffff, v26
	v_and_b32_e32 v7, 0xffff, v25
	v_add_nc_u32_e32 v4, 0x18c, v8
	v_lshrrev_b16 v0, 14, v0
	v_add_nc_u32_e32 v24, 0x14a, v8
	v_mul_u32_u24_e32 v1, 0xf83f, v1
	v_mul_u32_u24_e32 v7, 0xf83f, v7
	v_and_b32_e32 v17, 0xffff, v5
	v_mul_lo_u16 v0, 0x42, v0
	v_and_b32_e32 v18, 0xffff, v6
	v_lshrrev_b32_e32 v1, 22, v1
	v_and_b32_e32 v16, 0xffff, v4
	v_lshrrev_b32_e32 v63, 23, v7
	v_sub_nc_u16 v2, v12, v0
	v_mul_u32_u24_e32 v17, 0xf83f, v17
	v_mul_lo_u16 v3, 0x42, v1
	v_lshlrev_b64_e32 v[0:1], 2, v[8:9]
	v_mul_u32_u24_e32 v18, 0xf83f, v18
	v_and_b32_e32 v2, 0xff, v2
	v_mul_u32_u24_e32 v16, 0xf83f, v16
	v_sub_nc_u16 v3, v26, v3
	global_wb scope:SCOPE_SE
	s_wait_dscnt 0x0
	s_barrier_signal -1
	v_lshlrev_b32_e32 v45, 2, v2
	v_add_co_u32 v2, s0, s4, v0
	v_and_b32_e32 v19, 0xffff, v3
	s_wait_alu 0xf1ff
	v_add_co_ci_u32_e64 v3, s0, s5, v1, s0
	v_lshrrev_b32_e32 v16, 22, v16
	s_barrier_wait -1
	v_lshlrev_b32_e32 v47, 2, v19
	v_lshrrev_b32_e32 v19, 22, v7
	v_mov_b32_e32 v7, v9
	v_and_b32_e32 v15, 0xffff, v24
	global_inv scope:SCOPE_SE
	s_clause 0x1
	global_load_b32 v46, v45, s[4:5] offset:240
	global_load_b32 v49, v[2:3], off offset:240
	v_mul_lo_u16 v16, 0x42, v16
	v_mul_u32_u24_e32 v48, 0xf83f, v15
	v_lshrrev_b32_e32 v15, 22, v17
	v_lshrrev_b32_e32 v17, 22, v18
	v_mul_lo_u16 v19, 0x42, v19
	v_sub_nc_u16 v4, v4, v16
	v_lshrrev_b32_e32 v18, 22, v48
	v_mul_lo_u16 v15, 0x42, v15
	v_mul_lo_u16 v17, 0x42, v17
	v_sub_nc_u16 v16, v25, v19
	v_and_b32_e32 v4, 0xffff, v4
	v_mul_lo_u16 v18, 0x42, v18
	v_sub_nc_u16 v5, v5, v15
	v_sub_nc_u16 v6, v6, v17
	v_and_b32_e32 v16, 0xffff, v16
	v_lshlrev_b32_e32 v52, 2, v4
	v_sub_nc_u16 v15, v24, v18
	v_and_b32_e32 v5, 0xffff, v5
	v_and_b32_e32 v6, 0xffff, v6
	v_lshlrev_b32_e32 v54, 2, v16
	v_add3_u32 v17, 0, v41, v40
	v_and_b32_e32 v15, 0xffff, v15
	v_lshlrev_b32_e32 v51, 2, v5
	v_lshlrev_b32_e32 v50, 2, v6
	;; [unrolled: 1-line block ×3, first 2 shown]
	v_add_nc_u32_e32 v16, 0x200, v39
	v_lshlrev_b32_e32 v53, 2, v15
	s_clause 0x5
	global_load_b32 v55, v50, s[4:5] offset:240
	global_load_b32 v56, v51, s[4:5] offset:240
	;; [unrolled: 1-line block ×6, first 2 shown]
	v_add_nc_u32_e32 v15, 0x800, v39
	ds_load_b32 v61, v37
	ds_load_b32 v62, v39 offset:4488
	v_add_nc_u32_e32 v22, 0xc00, v39
	v_add_nc_u32_e32 v23, 0xa00, v39
	;; [unrolled: 1-line block ×3, first 2 shown]
	ds_load_2addr_b32 v[27:28], v15 offset0:82 offset1:148
	v_add3_u32 v19, 0, v5, v40
	v_add_nc_u32_e32 v21, 0x600, v39
	v_add_nc_u32_e32 v18, 0xe00, v39
	ds_load_2addr_b32 v[29:30], v16 offset0:70 offset1:136
	ds_load_2addr_b32 v[31:32], v20 offset0:74 offset1:140
	;; [unrolled: 1-line block ×6, first 2 shown]
	ds_load_b32 v64, v17
	ds_load_b32 v65, v19
	v_add3_u32 v54, 0, v54, v40
	global_wb scope:SCOPE_SE
	s_wait_loadcnt_dscnt 0x0
	s_barrier_signal -1
	s_barrier_wait -1
	global_inv scope:SCOPE_SE
	v_add3_u32 v45, 0, v45, v40
	v_lshrrev_b32_e32 v48, 23, v48
	v_add3_u32 v47, 0, v47, v40
	v_dual_mov_b32 v5, v9 :: v_dual_lshlrev_b32 v4, 1, v8
	v_add3_u32 v53, 0, v53, v40
	v_add3_u32 v52, 0, v52, v40
	v_mul_lo_u16 v63, 0x84, v63
	v_add3_u32 v51, 0, v51, v40
	v_add3_u32 v50, 0, v50, v40
	v_add_nc_u32_e32 v45, 0x400, v45
	v_lshlrev_b32_e32 v6, 1, v14
	v_mul_lo_u16 v48, 0x84, v48
	v_add_nc_u32_e32 v47, 0x400, v47
	v_lshlrev_b64_e32 v[4:5], 2, v[4:5]
	v_add_nc_u32_e32 v53, 0x800, v53
	v_add_nc_u32_e32 v52, 0xc00, v52
	;; [unrolled: 1-line block ×4, first 2 shown]
	v_lshlrev_b64_e32 v[6:7], 2, v[6:7]
	v_sub_nc_u16 v48, v24, v48
	v_add_co_u32 v4, s0, s4, v4
	s_wait_alu 0xf1ff
	v_add_co_ci_u32_e64 v5, s0, s5, v5, s0
	s_delay_alu instid0(VALU_DEP_3)
	v_and_b32_e32 v48, 0xffff, v48
	v_add_co_u32 v6, s0, s4, v6
	s_wait_alu 0xf1ff
	v_add_co_ci_u32_e64 v7, s0, s5, v7, s0
	v_pk_mul_f16 v68, v49, v27 op_sel:[0,1]
	v_pk_mul_f16 v67, v49, v28 op_sel:[0,1]
	s_delay_alu instid0(VALU_DEP_2) | instskip(SKIP_1) | instid1(VALU_DEP_3)
	v_pk_fma_f16 v70, v49, v27, v68 op_sel:[0,0,1] op_sel_hi:[1,1,0] neg_lo:[0,0,1] neg_hi:[0,0,1]
	v_pk_fma_f16 v27, v49, v27, v68 op_sel:[0,0,1] op_sel_hi:[1,0,0]
	v_pk_fma_f16 v69, v49, v28, v67 op_sel:[0,0,1] op_sel_hi:[1,1,0] neg_lo:[0,0,1] neg_hi:[0,0,1]
	v_pk_fma_f16 v28, v49, v28, v67 op_sel:[0,0,1] op_sel_hi:[1,0,0]
	v_add_nc_u32_e32 v49, 0x800, v54
	v_pk_mul_f16 v54, v43, v46 op_sel:[0,1]
	v_bfi_b32 v27, 0xffff, v70, v27
	s_delay_alu instid0(VALU_DEP_4) | instskip(NEXT) | instid1(VALU_DEP_3)
	v_bfi_b32 v28, 0xffff, v69, v28
	v_pk_fma_f16 v73, v43, v46, v54 op_sel:[0,0,1] op_sel_hi:[1,1,0] neg_lo:[0,0,1] neg_hi:[0,0,1]
	s_delay_alu instid0(VALU_DEP_3) | instskip(SKIP_1) | instid1(VALU_DEP_4)
	v_pk_add_f16 v27, v61, v27 neg_lo:[0,1] neg_hi:[0,1]
	v_pk_fma_f16 v43, v43, v46, v54 op_sel:[0,0,1] op_sel_hi:[1,0,0]
	v_pk_add_f16 v28, v64, v28 neg_lo:[0,1] neg_hi:[0,1]
	s_delay_alu instid0(VALU_DEP_3) | instskip(NEXT) | instid1(VALU_DEP_3)
	v_pk_fma_f16 v61, v61, 2.0, v27 op_sel_hi:[1,0,1] neg_lo:[0,0,1] neg_hi:[0,0,1]
	v_bfi_b32 v43, 0xffff, v73, v43
	s_delay_alu instid0(VALU_DEP_3)
	v_pk_fma_f16 v64, v64, 2.0, v28 op_sel_hi:[1,0,1] neg_lo:[0,0,1] neg_hi:[0,0,1]
	v_pk_mul_f16 v67, v62, v55 op_sel:[0,1]
	v_pk_mul_f16 v68, v36, v56 op_sel:[0,1]
	v_pk_mul_f16 v69, v35, v57 op_sel:[0,1]
	v_pk_mul_f16 v70, v42, v58 op_sel:[0,1]
	v_pk_mul_f16 v71, v41, v59 op_sel:[0,1]
	v_pk_mul_f16 v72, v44, v60 op_sel:[0,1]
	ds_store_2addr_b32 v39, v61, v27 offset1:66
	ds_store_2addr_b32 v39, v64, v28 offset0:132 offset1:198
	v_pk_fma_f16 v27, v62, v55, v67 op_sel:[0,0,1] op_sel_hi:[1,1,0] neg_lo:[0,0,1] neg_hi:[0,0,1]
	v_pk_fma_f16 v28, v62, v55, v67 op_sel:[0,0,1] op_sel_hi:[1,0,0]
	v_pk_fma_f16 v46, v36, v56, v68 op_sel:[0,0,1] op_sel_hi:[1,1,0] neg_lo:[0,0,1] neg_hi:[0,0,1]
	v_pk_fma_f16 v36, v36, v56, v68 op_sel:[0,0,1] op_sel_hi:[1,0,0]
	;; [unrolled: 2-line block ×6, first 2 shown]
	v_bfi_b32 v27, 0xffff, v27, v28
	v_bfi_b32 v28, 0xffff, v46, v36
	;; [unrolled: 1-line block ×6, first 2 shown]
	v_pk_add_f16 v43, v65, v43 neg_lo:[0,1] neg_hi:[0,1]
	v_pk_add_f16 v36, v31, v36 neg_lo:[0,1] neg_hi:[0,1]
	;; [unrolled: 1-line block ×7, first 2 shown]
	v_pk_fma_f16 v44, v65, 2.0, v43 op_sel_hi:[1,0,1] neg_lo:[0,0,1] neg_hi:[0,0,1]
	v_pk_fma_f16 v29, v29, 2.0, v42 op_sel_hi:[1,0,1] neg_lo:[0,0,1] neg_hi:[0,0,1]
	v_pk_fma_f16 v30, v30, 2.0, v41 op_sel_hi:[1,0,1] neg_lo:[0,0,1] neg_hi:[0,0,1]
	v_pk_fma_f16 v31, v31, 2.0, v36 op_sel_hi:[1,0,1] neg_lo:[0,0,1] neg_hi:[0,0,1]
	v_pk_fma_f16 v32, v32, 2.0, v35 op_sel_hi:[1,0,1] neg_lo:[0,0,1] neg_hi:[0,0,1]
	v_pk_fma_f16 v34, v34, 2.0, v27 op_sel_hi:[1,0,1] neg_lo:[0,0,1] neg_hi:[0,0,1]
	v_pk_fma_f16 v33, v33, 2.0, v28 op_sel_hi:[1,0,1] neg_lo:[0,0,1] neg_hi:[0,0,1]
	ds_store_2addr_b32 v45, v44, v43 offset0:8 offset1:74
	ds_store_2addr_b32 v47, v29, v42 offset0:140 offset1:206
	;; [unrolled: 1-line block ×7, first 2 shown]
	v_mov_b32_e32 v42, v9
	v_sub_nc_u16 v63, v25, v63
	global_wb scope:SCOPE_SE
	s_wait_dscnt 0x0
	s_barrier_signal -1
	s_barrier_wait -1
	global_inv scope:SCOPE_SE
	v_and_b32_e32 v63, 0xffff, v63
	global_load_b64 v[27:28], v[4:5], off offset:504
	v_lshlrev_b32_e32 v33, 3, v48
	v_lshlrev_b32_e32 v41, 1, v26
	;; [unrolled: 1-line block ×4, first 2 shown]
	s_clause 0x2
	global_load_b64 v[29:30], v[6:7], off offset:504
	global_load_b64 v[31:32], v66, s[4:5] offset:504
	global_load_b64 v[33:34], v33, s[4:5] offset:504
	v_dual_mov_b32 v26, v9 :: v_dual_lshlrev_b32 v43, 1, v24
	v_lshlrev_b32_e32 v55, 2, v48
	ds_load_b32 v59, v37
	ds_load_2addr_b32 v[45:46], v21 offset0:78 offset1:144
	ds_load_2addr_b32 v[47:48], v22 offset0:90 offset1:156
	ds_load_b32 v60, v17
	ds_load_b32 v61, v19
	ds_load_2addr_b32 v[49:50], v16 offset0:70 offset1:136
	ds_load_2addr_b32 v[51:52], v15 offset0:82 offset1:148
	ds_load_2addr_b32 v[53:54], v18 offset0:94 offset1:160
	v_lshlrev_b32_e32 v35, 1, v12
	v_lshlrev_b64_e32 v[24:25], 2, v[25:26]
	v_lshlrev_b32_e32 v26, 2, v63
	v_mov_b32_e32 v36, v9
	v_lshlrev_b64_e32 v[41:42], 2, v[41:42]
	v_dual_mov_b32 v44, v9 :: v_dual_add_nc_u32 v9, 0x600, v17
	s_delay_alu instid0(VALU_DEP_4)
	v_add3_u32 v26, 0, v26, v40
	v_add3_u32 v40, 0, v55, v40
	ds_load_2addr_b32 v[55:56], v20 offset0:74 offset1:140
	ds_load_2addr_b32 v[57:58], v23 offset0:86 offset1:152
	ds_load_b32 v62, v39 offset:4488
	v_lshlrev_b64_e32 v[35:36], 2, v[35:36]
	v_lshlrev_b64_e32 v[43:44], 2, v[43:44]
	s_wait_dscnt 0xa
	v_lshrrev_b32_e32 v65, 16, v59
	s_wait_dscnt 0x9
	v_lshrrev_b32_e32 v81, 16, v45
	;; [unrolled: 2-line block ×3, first 2 shown]
	v_lshrrev_b32_e32 v68, 16, v46
	v_lshrrev_b32_e32 v69, 16, v48
	s_wait_dscnt 0x5
	v_lshrrev_b32_e32 v70, 16, v49
	s_wait_dscnt 0x4
	;; [unrolled: 2-line block ×3, first 2 shown]
	v_lshrrev_b32_e32 v72, 16, v53
	v_lshrrev_b32_e32 v74, 16, v52
	;; [unrolled: 1-line block ×6, first 2 shown]
	v_add_co_u32 v35, s0, s4, v35
	s_wait_dscnt 0x2
	v_lshrrev_b32_e32 v79, 16, v56
	s_wait_dscnt 0x1
	v_lshrrev_b32_e32 v80, 16, v58
	v_lshrrev_b32_e32 v77, 16, v57
	s_wait_dscnt 0x0
	v_lshrrev_b32_e32 v78, 16, v62
	v_lshrrev_b32_e32 v76, 16, v55
	s_wait_alu 0xf1ff
	v_add_co_ci_u32_e64 v36, s0, s5, v36, s0
	v_add_co_u32 v41, s0, s4, v41
	s_wait_alu 0xf1ff
	v_add_co_ci_u32_e64 v42, s0, s5, v42, s0
	v_add_co_u32 v24, s0, s4, v24
	s_wait_alu 0xf1ff
	v_add_co_ci_u32_e64 v25, s0, s5, v25, s0
	v_add_nc_u32_e32 v63, 0xc00, v26
	v_add_nc_u32_e32 v64, 0xc00, v40
	global_wb scope:SCOPE_SE
	s_wait_loadcnt 0x0
	s_barrier_signal -1
	s_barrier_wait -1
	global_inv scope:SCOPE_SE
	v_lshrrev_b32_e32 v83, 16, v27
	v_lshrrev_b32_e32 v84, 16, v28
	s_delay_alu instid0(VALU_DEP_2)
	v_mul_f16_e32 v91, v83, v79
	v_lshrrev_b32_e32 v85, 16, v29
	v_lshrrev_b32_e32 v86, 16, v30
	;; [unrolled: 1-line block ×6, first 2 shown]
	v_mul_f16_e32 v92, v83, v56
	v_mul_f16_e32 v93, v84, v80
	;; [unrolled: 1-line block ×23, first 2 shown]
	v_fma_f16 v56, v27, v56, -v91
	v_fmac_f16_e32 v92, v27, v79
	v_fma_f16 v58, v28, v58, -v93
	v_fmac_f16_e32 v94, v28, v80
	v_fma_f16 v45, v29, v45, -v95
	v_fmac_f16_e32 v96, v29, v81
	v_fma_f16 v47, v30, v47, -v97
	v_fmac_f16_e32 v98, v30, v82
	v_fma_f16 v46, v46, v27, -v99
	v_fmac_f16_e32 v83, v68, v27
	v_fma_f16 v27, v48, v28, -v100
	v_fmac_f16_e32 v84, v69, v28
	v_fma_f16 v28, v51, v29, -v101
	v_fmac_f16_e32 v85, v71, v29
	v_fma_f16 v29, v53, v30, -v102
	v_fmac_f16_e32 v86, v72, v30
	v_fma_f16 v30, v52, v31, -v103
	v_fmac_f16_e32 v87, v74, v31
	v_fma_f16 v31, v54, v32, -v104
	v_fmac_f16_e32 v88, v75, v32
	v_fma_f16 v32, v57, v33, -v105
	v_fmac_f16_e32 v89, v77, v33
	v_fma_f16 v33, v62, v34, -v106
	v_fmac_f16_e32 v90, v78, v34
	v_add_f16_e32 v48, v56, v58
	v_add_f16_e32 v53, v92, v94
	;; [unrolled: 1-line block ×4, first 2 shown]
	v_sub_f16_e32 v51, v92, v94
	v_add_f16_e32 v52, v65, v92
	v_add_f16_e32 v72, v46, v27
	v_add_f16_e32 v77, v83, v84
	v_sub_f16_e32 v80, v85, v86
	v_add_f16_e32 v81, v70, v85
	v_add_f16_e32 v82, v85, v86
	v_add_f16_e32 v85, v30, v31
	;; [unrolled: 4-line block ×3, first 2 shown]
	v_sub_f16_e32 v54, v56, v58
	v_add_f16_e32 v56, v60, v45
	v_sub_f16_e32 v62, v96, v98
	v_add_f16_e32 v68, v66, v96
	v_add_f16_e32 v79, v28, v29
	;; [unrolled: 1-line block ×3, first 2 shown]
	v_sub_f16_e32 v96, v89, v90
	v_add_f16_e32 v97, v76, v89
	v_add_f16_e32 v89, v89, v90
	v_fmac_f16_e32 v59, -0.5, v48
	v_fmac_f16_e32 v65, -0.5, v53
	v_sub_f16_e32 v45, v45, v47
	v_fmac_f16_e32 v60, -0.5, v57
	v_fmac_f16_e32 v66, -0.5, v69
	v_add_f16_e32 v71, v61, v46
	v_sub_f16_e32 v74, v83, v84
	v_add_f16_e32 v75, v67, v83
	v_sub_f16_e32 v46, v46, v27
	;; [unrolled: 2-line block ×4, first 2 shown]
	v_fmac_f16_e32 v61, -0.5, v72
	v_fmac_f16_e32 v67, -0.5, v77
	;; [unrolled: 1-line block ×5, first 2 shown]
	v_add_f16_e32 v93, v55, v32
	v_sub_f16_e32 v32, v32, v33
	v_add_f16_e32 v34, v34, v58
	v_add_f16_e32 v48, v52, v94
	;; [unrolled: 1-line block ×4, first 2 shown]
	v_fma_f16 v49, -0.5, v79, v49
	v_fmac_f16_e32 v55, -0.5, v95
	v_fmac_f16_e32 v76, -0.5, v89
	v_fmamk_f16 v68, v51, 0x3aee, v59
	v_fmac_f16_e32 v59, 0xbaee, v51
	v_fmamk_f16 v51, v54, 0xbaee, v65
	v_fmac_f16_e32 v65, 0x3aee, v54
	;; [unrolled: 2-line block ×4, first 2 shown]
	v_add_f16_e32 v27, v71, v27
	v_add_f16_e32 v53, v75, v84
	v_fmamk_f16 v45, v74, 0x3aee, v61
	v_fmamk_f16 v69, v46, 0xbaee, v67
	;; [unrolled: 1-line block ×3, first 2 shown]
	v_fmac_f16_e32 v70, 0x3aee, v28
	v_fmamk_f16 v28, v91, 0x3aee, v50
	v_fmamk_f16 v72, v30, 0xbaee, v73
	v_add_f16_e32 v29, v78, v29
	v_add_f16_e32 v56, v81, v86
	;; [unrolled: 1-line block ×6, first 2 shown]
	v_fmac_f16_e32 v61, 0xbaee, v74
	v_fmac_f16_e32 v67, 0x3aee, v46
	v_fmamk_f16 v46, v80, 0x3aee, v49
	v_fmac_f16_e32 v49, 0xbaee, v80
	v_fmac_f16_e32 v50, 0xbaee, v91
	;; [unrolled: 1-line block ×3, first 2 shown]
	v_fmamk_f16 v30, v96, 0x3aee, v55
	v_fmac_f16_e32 v55, 0xbaee, v96
	v_fmamk_f16 v74, v32, 0xbaee, v76
	v_fmac_f16_e32 v76, 0x3aee, v32
	v_pack_b32_f16 v32, v34, v48
	v_pack_b32_f16 v34, v47, v52
	;; [unrolled: 1-line block ×18, first 2 shown]
	ds_store_2addr_b32 v39, v32, v47 offset1:132
	ds_store_b32 v39, v48 offset:1056
	ds_store_2addr_b32 v17, v34, v51 offset1:132
	ds_store_b32 v17, v52 offset:1056
	ds_store_2addr_b32 v21, v27, v45 offset0:12 offset1:144
	ds_store_b32 v39, v53 offset:2640
	ds_store_2addr_b32 v9, v29, v46 offset0:12 offset1:144
	;; [unrolled: 2-line block ×4, first 2 shown]
	ds_store_b32 v40, v54 offset:4224
	v_add_co_u32 v28, s0, s4, v43
	s_wait_alu 0xf1ff
	v_add_co_ci_u32_e64 v29, s0, s5, v44, s0
	global_wb scope:SCOPE_SE
	s_wait_dscnt 0x0
	s_barrier_signal -1
	s_barrier_wait -1
	global_inv scope:SCOPE_SE
	s_clause 0x5
	global_load_b64 v[4:5], v[4:5], off offset:1560
	global_load_b64 v[6:7], v[6:7], off offset:1560
	global_load_b64 v[26:27], v[35:36], off offset:1560
	global_load_b64 v[30:31], v[41:42], off offset:1560
	global_load_b64 v[24:25], v[24:25], off offset:1560
	global_load_b64 v[28:29], v[28:29], off offset:1560
	ds_load_b32 v9, v37
	ds_load_b32 v36, v17
	;; [unrolled: 1-line block ×3, first 2 shown]
	ds_load_2addr_b32 v[32:33], v21 offset0:78 offset1:144
	ds_load_2addr_b32 v[21:22], v22 offset0:90 offset1:156
	;; [unrolled: 1-line block ×7, first 2 shown]
	ds_load_b32 v20, v39 offset:4488
	global_wb scope:SCOPE_SE
	s_wait_loadcnt_dscnt 0x0
	s_barrier_signal -1
	s_barrier_wait -1
	global_inv scope:SCOPE_SE
	v_cmp_ne_u32_e64 s0, 0, v8
	v_lshrrev_b32_e32 v23, 16, v9
	v_lshrrev_b32_e32 v49, 16, v36
	;; [unrolled: 1-line block ×30, first 2 shown]
	v_mul_f16_e32 v78, v66, v62
	v_mul_f16_e32 v66, v66, v45
	;; [unrolled: 1-line block ×24, first 2 shown]
	v_fma_f16 v45, v4, v45, -v78
	v_fmac_f16_e32 v66, v4, v62
	v_fma_f16 v4, v5, v47, -v79
	v_fmac_f16_e32 v67, v5, v63
	;; [unrolled: 2-line block ×12, first 2 shown]
	v_add_f16_e32 v29, v45, v4
	v_add_f16_e32 v32, v66, v67
	;; [unrolled: 1-line block ×3, first 2 shown]
	v_sub_f16_e32 v33, v45, v4
	v_add_f16_e32 v41, v5, v6
	v_add_f16_e32 v45, v68, v69
	v_sub_f16_e32 v30, v66, v67
	v_add_f16_e32 v31, v23, v66
	v_add_f16_e32 v47, v7, v21
	;; [unrolled: 3-line block ×3, first 2 shown]
	v_add_f16_e32 v57, v22, v26
	v_sub_f16_e32 v58, v72, v73
	v_add_f16_e32 v60, v53, v72
	v_add_f16_e32 v61, v72, v73
	v_add_f16_e32 v63, v27, v24
	v_sub_f16_e32 v64, v74, v75
	v_add_f16_e32 v65, v56, v74
	v_add_f16_e32 v66, v74, v75
	v_add_f16_e32 v70, v25, v20
	v_sub_f16_e32 v72, v76, v77
	v_add_f16_e32 v74, v59, v76
	v_add_f16_e32 v76, v76, v77
	v_add_f16_e32 v43, v49, v68
	v_add_f16_e32 v55, v34, v22
	v_fmac_f16_e32 v9, -0.5, v29
	v_fmac_f16_e32 v23, -0.5, v32
	v_add_f16_e32 v40, v36, v5
	v_sub_f16_e32 v42, v68, v69
	v_sub_f16_e32 v5, v5, v6
	v_fmac_f16_e32 v36, -0.5, v41
	v_fmac_f16_e32 v49, -0.5, v45
	v_add_f16_e32 v46, v48, v7
	v_sub_f16_e32 v7, v7, v21
	v_sub_f16_e32 v22, v22, v26
	v_add_f16_e32 v62, v35, v27
	v_sub_f16_e32 v27, v27, v24
	v_add_f16_e32 v68, v44, v25
	v_sub_f16_e32 v25, v25, v20
	v_add_f16_e32 v4, v28, v4
	v_add_f16_e32 v28, v31, v67
	v_fmac_f16_e32 v48, -0.5, v47
	v_fmac_f16_e32 v50, -0.5, v54
	v_fma_f16 v32, -0.5, v57, v34
	v_fmac_f16_e32 v53, -0.5, v61
	v_fmac_f16_e32 v35, -0.5, v63
	;; [unrolled: 1-line block ×5, first 2 shown]
	v_add_f16_e32 v29, v43, v69
	v_add_f16_e32 v26, v55, v26
	;; [unrolled: 1-line block ×3, first 2 shown]
	v_fmamk_f16 v43, v30, 0x3aee, v9
	v_fmac_f16_e32 v9, 0xbaee, v30
	v_fmamk_f16 v30, v33, 0xbaee, v23
	v_fmac_f16_e32 v23, 0x3aee, v33
	v_add_f16_e32 v6, v40, v6
	v_fmamk_f16 v33, v42, 0x3aee, v36
	v_fmac_f16_e32 v36, 0xbaee, v42
	v_fmamk_f16 v42, v5, 0xbaee, v49
	v_add_f16_e32 v21, v46, v21
	v_add_f16_e32 v31, v52, v71
	;; [unrolled: 1-line block ×6, first 2 shown]
	v_fmac_f16_e32 v49, 0x3aee, v5
	v_fmamk_f16 v5, v51, 0x3aee, v48
	v_fmac_f16_e32 v48, 0xbaee, v51
	v_fmamk_f16 v45, v7, 0xbaee, v50
	;; [unrolled: 2-line block ×8, first 2 shown]
	v_fmac_f16_e32 v59, 0x3aee, v25
	v_pack_b32_f16 v4, v4, v28
	v_pack_b32_f16 v25, v26, v34
	;; [unrolled: 1-line block ×18, first 2 shown]
	ds_store_b32 v39, v4
	ds_store_b32 v39, v26 offset:1584
	ds_store_b32 v39, v9 offset:3168
	ds_store_b32 v17, v6
	ds_store_b32 v17, v23 offset:1584
	ds_store_b32 v17, v28 offset:3168
	ds_store_b32 v19, v21
	ds_store_b32 v19, v5 offset:1584
	ds_store_b32 v19, v29 offset:3168
	ds_store_2addr_b32 v16, v25, v24 offset0:70 offset1:136
	ds_store_2addr_b32 v15, v7, v22 offset0:82 offset1:148
	;; [unrolled: 1-line block ×3, first 2 shown]
	ds_store_b32 v39, v20 offset:1320
	ds_store_b32 v39, v27 offset:2904
	;; [unrolled: 1-line block ×3, first 2 shown]
	global_wb scope:SCOPE_SE
	s_wait_dscnt 0x0
	s_barrier_signal -1
	s_barrier_wait -1
	global_inv scope:SCOPE_SE
	ds_load_b32 v9, v37
	v_sub_nc_u32_e32 v4, v38, v13
                                        ; implicit-def: $vgpr6
                                        ; implicit-def: $vgpr5
                                        ; implicit-def: $vgpr7
	s_and_saveexec_b32 s1, s0
	s_wait_alu 0xfffe
	s_xor_b32 s0, exec_lo, s1
	s_cbranch_execz .LBB0_18
; %bb.17:
	global_load_b32 v2, v[2:3], off offset:4728
	ds_load_b32 v3, v4 offset:4752
	s_wait_dscnt 0x0
	v_pk_add_f16 v5, v9, v3 neg_lo:[0,1] neg_hi:[0,1]
	v_pk_add_f16 v3, v3, v9
	s_delay_alu instid0(VALU_DEP_1) | instskip(SKIP_1) | instid1(VALU_DEP_2)
	v_bfi_b32 v6, 0xffff, v5, v3
	v_bfi_b32 v3, 0xffff, v3, v5
	v_pk_mul_f16 v6, v6, 0.5 op_sel_hi:[1,0]
	s_delay_alu instid0(VALU_DEP_2) | instskip(SKIP_1) | instid1(VALU_DEP_2)
	v_pk_mul_f16 v7, v3, 0.5 op_sel_hi:[1,0]
	s_wait_loadcnt 0x0
	v_pk_mul_f16 v5, v2, v6 op_sel:[1,0]
	v_pk_mul_f16 v2, v2, v6 op_sel_hi:[0,1]
	s_delay_alu instid0(VALU_DEP_3) | instskip(NEXT) | instid1(VALU_DEP_3)
	v_lshrrev_b32_e32 v6, 16, v7
	v_pk_fma_f16 v3, v3, 0.5, v5 op_sel_hi:[1,0,1]
	v_lshrrev_b32_e32 v9, 16, v5
	v_sub_f16_e32 v5, v7, v5
	v_lshrrev_b32_e32 v7, 16, v2
	s_delay_alu instid0(VALU_DEP_4) | instskip(SKIP_2) | instid1(VALU_DEP_4)
	v_pk_add_f16 v13, v3, v2 op_sel:[0,1] op_sel_hi:[1,0]
	v_pk_add_f16 v3, v3, v2 op_sel:[0,1] op_sel_hi:[1,0] neg_lo:[0,1] neg_hi:[0,1]
	v_sub_f16_e32 v9, v9, v6
	v_sub_f16_e32 v5, v5, v7
	s_delay_alu instid0(VALU_DEP_3) | instskip(NEXT) | instid1(VALU_DEP_3)
	v_bfi_b32 v6, 0xffff, v13, v3
	v_sub_f16_e32 v7, v9, v2
                                        ; implicit-def: $vgpr9
.LBB0_18:
	s_wait_alu 0xfffe
	s_and_not1_saveexec_b32 s0, s0
	s_cbranch_execz .LBB0_20
; %bb.19:
	ds_load_u16 v2, v38 offset:2378
	s_wait_dscnt 0x1
	s_wait_alu 0xfffe
	v_alignbit_b32 v3, s0, v9, 16
	v_lshrrev_b32_e32 v5, 16, v9
	v_mov_b32_e32 v7, 0
	s_delay_alu instid0(VALU_DEP_3) | instskip(NEXT) | instid1(VALU_DEP_3)
	v_pk_add_f16 v3, v3, v9
	v_sub_f16_e32 v5, v9, v5
	s_delay_alu instid0(VALU_DEP_2)
	v_pack_b32_f16 v6, v3, 0
	s_wait_dscnt 0x0
	v_xor_b32_e32 v2, 0x8000, v2
	ds_store_b16 v38, v2 offset:2378
.LBB0_20:
	s_wait_alu 0xfffe
	s_or_b32 exec_lo, exec_lo, s0
	v_mov_b32_e32 v15, 0
	s_delay_alu instid0(VALU_DEP_1) | instskip(SKIP_2) | instid1(VALU_DEP_3)
	v_lshlrev_b64_e32 v[2:3], 2, v[14:15]
	v_mov_b32_e32 v13, v15
	v_lshl_add_u32 v14, v14, 2, v38
	v_add_co_u32 v2, s0, s4, v2
	s_wait_alu 0xf1ff
	s_delay_alu instid0(VALU_DEP_4) | instskip(SKIP_3) | instid1(VALU_DEP_1)
	v_add_co_ci_u32_e64 v3, s0, s5, v3, s0
	s_wait_dscnt 0x0
	global_load_b32 v9, v[2:3], off offset:4728
	v_lshlrev_b64_e32 v[2:3], 2, v[12:13]
	v_add_co_u32 v2, s0, s4, v2
	s_wait_alu 0xf1ff
	s_delay_alu instid0(VALU_DEP_2)
	v_add_co_ci_u32_e64 v3, s0, s5, v3, s0
	s_add_nc_u64 s[0:1], s[4:5], 0x1278
	global_load_b32 v13, v[2:3], off offset:4728
	s_wait_alu 0xfffe
	v_add_co_u32 v2, s0, s0, v0
	s_wait_alu 0xf1ff
	v_add_co_ci_u32_e64 v3, s0, s1, v1, s0
	s_clause 0x2
	global_load_b32 v15, v[2:3], off offset:792
	global_load_b32 v16, v[2:3], off offset:1056
	;; [unrolled: 1-line block ×3, first 2 shown]
	ds_store_b16 v4, v7 offset:4754
	ds_store_b32 v37, v6
	ds_store_b16 v4, v5 offset:4752
	ds_load_b32 v5, v14
	ds_load_b32 v6, v4 offset:4488
	global_load_b32 v7, v[2:3], off offset:1584
	s_wait_dscnt 0x0
	v_pk_add_f16 v18, v5, v6 neg_lo:[0,1] neg_hi:[0,1]
	v_pk_add_f16 v5, v5, v6
	s_delay_alu instid0(VALU_DEP_1)
	v_bfi_b32 v6, 0xffff, v18, v5
	v_bfi_b32 v5, 0xffff, v5, v18
	s_clause 0x1
	global_load_b32 v18, v[2:3], off offset:1848
	global_load_b32 v2, v[2:3], off offset:2112
	v_pk_mul_f16 v6, v6, 0.5 op_sel_hi:[1,0]
	v_pk_mul_f16 v5, v5, 0.5 op_sel_hi:[1,0]
	s_wait_loadcnt 0x7
	s_delay_alu instid0(VALU_DEP_1) | instskip(SKIP_3) | instid1(VALU_DEP_3)
	v_pk_fma_f16 v3, v9, v6, v5 op_sel:[1,0,0]
	v_pk_mul_f16 v19, v9, v6 op_sel_hi:[0,1]
	v_pk_fma_f16 v20, v9, v6, v5 op_sel:[1,0,0] neg_lo:[1,0,0] neg_hi:[1,0,0]
	v_pk_fma_f16 v5, v9, v6, v5 op_sel:[1,0,0] neg_lo:[0,0,1] neg_hi:[0,0,1]
	v_pk_add_f16 v6, v3, v19 op_sel:[0,1] op_sel_hi:[1,0]
	v_pk_add_f16 v3, v3, v19 op_sel:[0,1] op_sel_hi:[1,0] neg_lo:[0,1] neg_hi:[0,1]
	s_delay_alu instid0(VALU_DEP_4) | instskip(NEXT) | instid1(VALU_DEP_4)
	v_pk_add_f16 v9, v20, v19 op_sel:[0,1] op_sel_hi:[1,0] neg_lo:[0,1] neg_hi:[0,1]
	v_pk_add_f16 v5, v5, v19 op_sel:[0,1] op_sel_hi:[1,0] neg_lo:[0,1] neg_hi:[0,1]
	s_delay_alu instid0(VALU_DEP_3) | instskip(SKIP_1) | instid1(VALU_DEP_3)
	v_bfi_b32 v3, 0xffff, v6, v3
	v_lshl_add_u32 v6, v12, 2, v38
	v_bfi_b32 v5, 0xffff, v9, v5
	ds_store_b32 v14, v3
	ds_store_b32 v4, v5 offset:4488
	ds_load_b32 v3, v6
	ds_load_b32 v5, v4 offset:4224
	s_wait_dscnt 0x0
	v_pk_add_f16 v9, v3, v5 neg_lo:[0,1] neg_hi:[0,1]
	v_pk_add_f16 v3, v3, v5
	s_delay_alu instid0(VALU_DEP_1) | instskip(SKIP_1) | instid1(VALU_DEP_2)
	v_bfi_b32 v5, 0xffff, v9, v3
	v_bfi_b32 v3, 0xffff, v3, v9
	v_pk_mul_f16 v5, v5, 0.5 op_sel_hi:[1,0]
	s_delay_alu instid0(VALU_DEP_2) | instskip(SKIP_1) | instid1(VALU_DEP_2)
	v_pk_mul_f16 v3, v3, 0.5 op_sel_hi:[1,0]
	s_wait_loadcnt 0x6
	v_pk_mul_f16 v12, v13, v5 op_sel_hi:[0,1]
	s_delay_alu instid0(VALU_DEP_2) | instskip(SKIP_2) | instid1(VALU_DEP_3)
	v_pk_fma_f16 v9, v13, v5, v3 op_sel:[1,0,0]
	v_pk_fma_f16 v14, v13, v5, v3 op_sel:[1,0,0] neg_lo:[1,0,0] neg_hi:[1,0,0]
	v_pk_fma_f16 v3, v13, v5, v3 op_sel:[1,0,0] neg_lo:[0,0,1] neg_hi:[0,0,1]
	v_pk_add_f16 v5, v9, v12 op_sel:[0,1] op_sel_hi:[1,0]
	v_pk_add_f16 v9, v9, v12 op_sel:[0,1] op_sel_hi:[1,0] neg_lo:[0,1] neg_hi:[0,1]
	s_delay_alu instid0(VALU_DEP_4) | instskip(NEXT) | instid1(VALU_DEP_4)
	v_pk_add_f16 v13, v14, v12 op_sel:[0,1] op_sel_hi:[1,0] neg_lo:[0,1] neg_hi:[0,1]
	v_pk_add_f16 v3, v3, v12 op_sel:[0,1] op_sel_hi:[1,0] neg_lo:[0,1] neg_hi:[0,1]
	s_delay_alu instid0(VALU_DEP_3) | instskip(NEXT) | instid1(VALU_DEP_2)
	v_bfi_b32 v5, 0xffff, v5, v9
	v_bfi_b32 v3, 0xffff, v13, v3
	ds_store_b32 v6, v5
	ds_store_b32 v4, v3 offset:4224
	ds_load_b32 v3, v37 offset:792
	ds_load_b32 v5, v4 offset:3960
	s_wait_dscnt 0x0
	v_pk_add_f16 v6, v3, v5 neg_lo:[0,1] neg_hi:[0,1]
	v_pk_add_f16 v3, v3, v5
	s_delay_alu instid0(VALU_DEP_1) | instskip(SKIP_1) | instid1(VALU_DEP_2)
	v_bfi_b32 v5, 0xffff, v6, v3
	v_bfi_b32 v3, 0xffff, v3, v6
	v_pk_mul_f16 v5, v5, 0.5 op_sel_hi:[1,0]
	s_delay_alu instid0(VALU_DEP_2) | instskip(SKIP_1) | instid1(VALU_DEP_2)
	v_pk_mul_f16 v6, v3, 0.5 op_sel_hi:[1,0]
	s_wait_loadcnt 0x5
	v_pk_mul_f16 v9, v15, v5 op_sel:[1,0]
	s_delay_alu instid0(VALU_DEP_2) | instskip(SKIP_1) | instid1(VALU_DEP_3)
	v_lshrrev_b32_e32 v12, 16, v6
	v_pk_mul_f16 v5, v15, v5 op_sel_hi:[0,1]
	v_lshrrev_b32_e32 v13, 16, v9
	v_pk_fma_f16 v3, v3, 0.5, v9 op_sel_hi:[1,0,1]
	v_sub_f16_e32 v6, v6, v9
	s_delay_alu instid0(VALU_DEP_3) | instskip(NEXT) | instid1(VALU_DEP_3)
	v_sub_f16_e32 v12, v13, v12
	v_pk_add_f16 v9, v3, v5 op_sel:[0,1] op_sel_hi:[1,0]
	v_pk_add_f16 v3, v3, v5 op_sel:[0,1] op_sel_hi:[1,0] neg_lo:[0,1] neg_hi:[0,1]
	v_lshrrev_b32_e32 v13, 16, v5
	s_delay_alu instid0(VALU_DEP_4) | instskip(NEXT) | instid1(VALU_DEP_3)
	v_sub_f16_e32 v5, v12, v5
	v_bfi_b32 v3, 0xffff, v9, v3
	s_delay_alu instid0(VALU_DEP_3)
	v_sub_f16_e32 v6, v6, v13
	ds_store_b16 v4, v5 offset:3962
	ds_store_b32 v37, v3 offset:792
	ds_store_b16 v4, v6 offset:3960
	ds_load_b32 v3, v37 offset:1056
	ds_load_b32 v5, v4 offset:3696
	s_wait_dscnt 0x0
	v_pk_add_f16 v6, v3, v5 neg_lo:[0,1] neg_hi:[0,1]
	v_pk_add_f16 v3, v3, v5
	s_delay_alu instid0(VALU_DEP_1) | instskip(SKIP_1) | instid1(VALU_DEP_2)
	v_bfi_b32 v5, 0xffff, v6, v3
	v_bfi_b32 v3, 0xffff, v3, v6
	v_pk_mul_f16 v5, v5, 0.5 op_sel_hi:[1,0]
	s_delay_alu instid0(VALU_DEP_2) | instskip(SKIP_1) | instid1(VALU_DEP_2)
	v_pk_mul_f16 v6, v3, 0.5 op_sel_hi:[1,0]
	s_wait_loadcnt 0x4
	v_pk_mul_f16 v9, v16, v5 op_sel:[1,0]
	s_delay_alu instid0(VALU_DEP_2) | instskip(SKIP_1) | instid1(VALU_DEP_3)
	v_lshrrev_b32_e32 v12, 16, v6
	v_pk_mul_f16 v5, v16, v5 op_sel_hi:[0,1]
	v_lshrrev_b32_e32 v13, 16, v9
	v_pk_fma_f16 v3, v3, 0.5, v9 op_sel_hi:[1,0,1]
	v_sub_f16_e32 v6, v6, v9
	s_delay_alu instid0(VALU_DEP_3) | instskip(NEXT) | instid1(VALU_DEP_3)
	v_sub_f16_e32 v12, v13, v12
	v_pk_add_f16 v9, v3, v5 op_sel:[0,1] op_sel_hi:[1,0]
	v_pk_add_f16 v3, v3, v5 op_sel:[0,1] op_sel_hi:[1,0] neg_lo:[0,1] neg_hi:[0,1]
	v_lshrrev_b32_e32 v13, 16, v5
	s_delay_alu instid0(VALU_DEP_4) | instskip(NEXT) | instid1(VALU_DEP_3)
	v_sub_f16_e32 v5, v12, v5
	v_bfi_b32 v3, 0xffff, v9, v3
	s_delay_alu instid0(VALU_DEP_3)
	v_sub_f16_e32 v6, v6, v13
	ds_store_b16 v4, v5 offset:3698
	ds_store_b32 v37, v3 offset:1056
	ds_store_b16 v4, v6 offset:3696
	;; [unrolled: 32-line block ×3, first 2 shown]
	ds_load_b32 v3, v37 offset:1584
	ds_load_b32 v5, v4 offset:3168
	s_wait_dscnt 0x0
	v_pk_add_f16 v6, v3, v5 neg_lo:[0,1] neg_hi:[0,1]
	v_pk_add_f16 v3, v3, v5
	s_delay_alu instid0(VALU_DEP_1) | instskip(SKIP_1) | instid1(VALU_DEP_2)
	v_bfi_b32 v5, 0xffff, v6, v3
	v_bfi_b32 v3, 0xffff, v3, v6
	v_pk_mul_f16 v5, v5, 0.5 op_sel_hi:[1,0]
	s_delay_alu instid0(VALU_DEP_2) | instskip(SKIP_1) | instid1(VALU_DEP_2)
	v_pk_mul_f16 v6, v3, 0.5 op_sel_hi:[1,0]
	s_wait_loadcnt 0x2
	v_pk_mul_f16 v9, v7, v5 op_sel:[1,0]
	v_pk_mul_f16 v5, v7, v5 op_sel_hi:[0,1]
	s_delay_alu instid0(VALU_DEP_3) | instskip(NEXT) | instid1(VALU_DEP_3)
	v_lshrrev_b32_e32 v7, 16, v6
	v_lshrrev_b32_e32 v12, 16, v9
	v_pk_fma_f16 v3, v3, 0.5, v9 op_sel_hi:[1,0,1]
	v_sub_f16_e32 v6, v6, v9
	s_delay_alu instid0(VALU_DEP_3) | instskip(NEXT) | instid1(VALU_DEP_3)
	v_sub_f16_e32 v7, v12, v7
	v_pk_add_f16 v9, v3, v5 op_sel:[0,1] op_sel_hi:[1,0]
	v_pk_add_f16 v3, v3, v5 op_sel:[0,1] op_sel_hi:[1,0] neg_lo:[0,1] neg_hi:[0,1]
	v_lshrrev_b32_e32 v12, 16, v5
	s_delay_alu instid0(VALU_DEP_4) | instskip(NEXT) | instid1(VALU_DEP_3)
	v_sub_f16_e32 v5, v7, v5
	v_bfi_b32 v3, 0xffff, v9, v3
	s_delay_alu instid0(VALU_DEP_3)
	v_sub_f16_e32 v6, v6, v12
	ds_store_b16 v4, v5 offset:3170
	ds_store_b32 v37, v3 offset:1584
	ds_store_b16 v4, v6 offset:3168
	ds_load_b32 v3, v37 offset:1848
	ds_load_b32 v5, v4 offset:2904
	s_wait_dscnt 0x0
	v_pk_add_f16 v6, v3, v5 neg_lo:[0,1] neg_hi:[0,1]
	v_pk_add_f16 v3, v3, v5
	s_delay_alu instid0(VALU_DEP_1) | instskip(SKIP_1) | instid1(VALU_DEP_2)
	v_bfi_b32 v5, 0xffff, v6, v3
	v_bfi_b32 v3, 0xffff, v3, v6
	v_pk_mul_f16 v5, v5, 0.5 op_sel_hi:[1,0]
	s_delay_alu instid0(VALU_DEP_2) | instskip(SKIP_1) | instid1(VALU_DEP_2)
	v_pk_mul_f16 v3, v3, 0.5 op_sel_hi:[1,0]
	s_wait_loadcnt 0x1
	v_pk_mul_f16 v7, v18, v5 op_sel_hi:[0,1]
	s_delay_alu instid0(VALU_DEP_2) | instskip(SKIP_2) | instid1(VALU_DEP_3)
	v_pk_fma_f16 v6, v18, v5, v3 op_sel:[1,0,0]
	v_pk_fma_f16 v9, v18, v5, v3 op_sel:[1,0,0] neg_lo:[1,0,0] neg_hi:[1,0,0]
	v_pk_fma_f16 v3, v18, v5, v3 op_sel:[1,0,0] neg_lo:[0,0,1] neg_hi:[0,0,1]
	v_pk_add_f16 v5, v6, v7 op_sel:[0,1] op_sel_hi:[1,0]
	v_pk_add_f16 v6, v6, v7 op_sel:[0,1] op_sel_hi:[1,0] neg_lo:[0,1] neg_hi:[0,1]
	s_delay_alu instid0(VALU_DEP_4) | instskip(NEXT) | instid1(VALU_DEP_4)
	v_pk_add_f16 v9, v9, v7 op_sel:[0,1] op_sel_hi:[1,0] neg_lo:[0,1] neg_hi:[0,1]
	v_pk_add_f16 v3, v3, v7 op_sel:[0,1] op_sel_hi:[1,0] neg_lo:[0,1] neg_hi:[0,1]
	s_delay_alu instid0(VALU_DEP_3) | instskip(NEXT) | instid1(VALU_DEP_2)
	v_bfi_b32 v5, 0xffff, v5, v6
	v_bfi_b32 v3, 0xffff, v9, v3
	ds_store_b32 v37, v5 offset:1848
	ds_store_b32 v4, v3 offset:2904
	ds_load_b32 v3, v37 offset:2112
	ds_load_b32 v5, v4 offset:2640
	s_wait_dscnt 0x0
	v_pk_add_f16 v6, v3, v5 neg_lo:[0,1] neg_hi:[0,1]
	v_pk_add_f16 v3, v3, v5
	s_delay_alu instid0(VALU_DEP_1) | instskip(SKIP_1) | instid1(VALU_DEP_2)
	v_bfi_b32 v5, 0xffff, v6, v3
	v_bfi_b32 v3, 0xffff, v3, v6
	v_pk_mul_f16 v5, v5, 0.5 op_sel_hi:[1,0]
	s_delay_alu instid0(VALU_DEP_2) | instskip(SKIP_1) | instid1(VALU_DEP_2)
	v_pk_mul_f16 v3, v3, 0.5 op_sel_hi:[1,0]
	s_wait_loadcnt 0x0
	v_pk_mul_f16 v7, v2, v5 op_sel_hi:[0,1]
	s_delay_alu instid0(VALU_DEP_2) | instskip(SKIP_2) | instid1(VALU_DEP_3)
	v_pk_fma_f16 v6, v2, v5, v3 op_sel:[1,0,0]
	v_pk_fma_f16 v9, v2, v5, v3 op_sel:[1,0,0] neg_lo:[1,0,0] neg_hi:[1,0,0]
	v_pk_fma_f16 v2, v2, v5, v3 op_sel:[1,0,0] neg_lo:[0,0,1] neg_hi:[0,0,1]
	v_pk_add_f16 v3, v6, v7 op_sel:[0,1] op_sel_hi:[1,0]
	v_pk_add_f16 v5, v6, v7 op_sel:[0,1] op_sel_hi:[1,0] neg_lo:[0,1] neg_hi:[0,1]
	s_delay_alu instid0(VALU_DEP_4) | instskip(NEXT) | instid1(VALU_DEP_4)
	v_pk_add_f16 v6, v9, v7 op_sel:[0,1] op_sel_hi:[1,0] neg_lo:[0,1] neg_hi:[0,1]
	v_pk_add_f16 v2, v2, v7 op_sel:[0,1] op_sel_hi:[1,0] neg_lo:[0,1] neg_hi:[0,1]
	s_delay_alu instid0(VALU_DEP_3) | instskip(NEXT) | instid1(VALU_DEP_2)
	v_bfi_b32 v3, 0xffff, v3, v5
	v_bfi_b32 v2, 0xffff, v6, v2
	ds_store_b32 v37, v3 offset:2112
	ds_store_b32 v4, v2 offset:2640
	global_wb scope:SCOPE_SE
	s_wait_dscnt 0x0
	s_barrier_signal -1
	s_barrier_wait -1
	global_inv scope:SCOPE_SE
	s_and_saveexec_b32 s0, vcc_lo
	s_cbranch_execz .LBB0_23
; %bb.21:
	v_add_co_u32 v2, vcc_lo, s8, v10
	v_add_nc_u32_e32 v9, 0x400, v37
	v_add_nc_u32_e32 v20, 0xc00, v37
	v_add_nc_u32_e32 v16, 0x800, v37
	s_wait_alu 0xfffd
	v_add_co_ci_u32_e32 v3, vcc_lo, s9, v11, vcc_lo
	v_add_nc_u32_e32 v11, 0x1000, v37
	ds_load_2addr_b32 v[4:5], v37 offset1:66
	ds_load_2addr_b32 v[6:7], v37 offset0:132 offset1:198
	ds_load_2addr_b32 v[12:13], v9 offset0:8 offset1:74
	;; [unrolled: 1-line block ×8, first 2 shown]
	v_add_co_u32 v0, vcc_lo, v2, v0
	s_wait_alu 0xfffd
	v_add_co_ci_u32_e32 v1, vcc_lo, v3, v1, vcc_lo
	v_cmp_eq_u32_e32 vcc_lo, 0x41, v8
	s_wait_dscnt 0x8
	s_clause 0x1
	global_store_b32 v[0:1], v4, off
	global_store_b32 v[0:1], v5, off offset:264
	s_wait_dscnt 0x7
	s_clause 0x1
	global_store_b32 v[0:1], v6, off offset:528
	global_store_b32 v[0:1], v7, off offset:792
	s_wait_dscnt 0x6
	s_clause 0x1
	global_store_b32 v[0:1], v12, off offset:1056
	global_store_b32 v[0:1], v13, off offset:1320
	s_wait_dscnt 0x5
	s_clause 0x1
	global_store_b32 v[0:1], v9, off offset:1584
	global_store_b32 v[0:1], v10, off offset:1848
	s_wait_dscnt 0x4
	s_clause 0x1
	global_store_b32 v[0:1], v14, off offset:2112
	global_store_b32 v[0:1], v15, off offset:2376
	s_wait_dscnt 0x3
	s_clause 0x1
	global_store_b32 v[0:1], v16, off offset:2640
	global_store_b32 v[0:1], v17, off offset:2904
	s_wait_dscnt 0x2
	s_clause 0x1
	global_store_b32 v[0:1], v18, off offset:3168
	global_store_b32 v[0:1], v19, off offset:3432
	s_wait_dscnt 0x1
	s_clause 0x1
	global_store_b32 v[0:1], v20, off offset:3696
	global_store_b32 v[0:1], v21, off offset:3960
	s_wait_dscnt 0x0
	s_clause 0x1
	global_store_b32 v[0:1], v22, off offset:4224
	global_store_b32 v[0:1], v23, off offset:4488
	s_and_b32 exec_lo, exec_lo, vcc_lo
	s_cbranch_execz .LBB0_23
; %bb.22:
	ds_load_b32 v0, v37 offset:4492
	s_wait_dscnt 0x0
	global_store_b32 v[2:3], v0, off offset:4752
.LBB0_23:
	s_nop 0
	s_sendmsg sendmsg(MSG_DEALLOC_VGPRS)
	s_endpgm
	.section	.rodata,"a",@progbits
	.p2align	6, 0x0
	.amdhsa_kernel fft_rtc_fwd_len1188_factors_6_11_2_3_3_wgs_198_tpt_66_halfLds_half_ip_CI_unitstride_sbrr_R2C_dirReg
		.amdhsa_group_segment_fixed_size 0
		.amdhsa_private_segment_fixed_size 0
		.amdhsa_kernarg_size 88
		.amdhsa_user_sgpr_count 2
		.amdhsa_user_sgpr_dispatch_ptr 0
		.amdhsa_user_sgpr_queue_ptr 0
		.amdhsa_user_sgpr_kernarg_segment_ptr 1
		.amdhsa_user_sgpr_dispatch_id 0
		.amdhsa_user_sgpr_private_segment_size 0
		.amdhsa_wavefront_size32 1
		.amdhsa_uses_dynamic_stack 0
		.amdhsa_enable_private_segment 0
		.amdhsa_system_sgpr_workgroup_id_x 1
		.amdhsa_system_sgpr_workgroup_id_y 0
		.amdhsa_system_sgpr_workgroup_id_z 0
		.amdhsa_system_sgpr_workgroup_info 0
		.amdhsa_system_vgpr_workitem_id 0
		.amdhsa_next_free_vgpr 149
		.amdhsa_next_free_sgpr 32
		.amdhsa_reserve_vcc 1
		.amdhsa_float_round_mode_32 0
		.amdhsa_float_round_mode_16_64 0
		.amdhsa_float_denorm_mode_32 3
		.amdhsa_float_denorm_mode_16_64 3
		.amdhsa_fp16_overflow 0
		.amdhsa_workgroup_processor_mode 1
		.amdhsa_memory_ordered 1
		.amdhsa_forward_progress 0
		.amdhsa_round_robin_scheduling 0
		.amdhsa_exception_fp_ieee_invalid_op 0
		.amdhsa_exception_fp_denorm_src 0
		.amdhsa_exception_fp_ieee_div_zero 0
		.amdhsa_exception_fp_ieee_overflow 0
		.amdhsa_exception_fp_ieee_underflow 0
		.amdhsa_exception_fp_ieee_inexact 0
		.amdhsa_exception_int_div_zero 0
	.end_amdhsa_kernel
	.text
.Lfunc_end0:
	.size	fft_rtc_fwd_len1188_factors_6_11_2_3_3_wgs_198_tpt_66_halfLds_half_ip_CI_unitstride_sbrr_R2C_dirReg, .Lfunc_end0-fft_rtc_fwd_len1188_factors_6_11_2_3_3_wgs_198_tpt_66_halfLds_half_ip_CI_unitstride_sbrr_R2C_dirReg
                                        ; -- End function
	.section	.AMDGPU.csdata,"",@progbits
; Kernel info:
; codeLenInByte = 15724
; NumSgprs: 34
; NumVgprs: 149
; ScratchSize: 0
; MemoryBound: 0
; FloatMode: 240
; IeeeMode: 1
; LDSByteSize: 0 bytes/workgroup (compile time only)
; SGPRBlocks: 4
; VGPRBlocks: 18
; NumSGPRsForWavesPerEU: 34
; NumVGPRsForWavesPerEU: 149
; Occupancy: 9
; WaveLimiterHint : 1
; COMPUTE_PGM_RSRC2:SCRATCH_EN: 0
; COMPUTE_PGM_RSRC2:USER_SGPR: 2
; COMPUTE_PGM_RSRC2:TRAP_HANDLER: 0
; COMPUTE_PGM_RSRC2:TGID_X_EN: 1
; COMPUTE_PGM_RSRC2:TGID_Y_EN: 0
; COMPUTE_PGM_RSRC2:TGID_Z_EN: 0
; COMPUTE_PGM_RSRC2:TIDIG_COMP_CNT: 0
	.text
	.p2alignl 7, 3214868480
	.fill 96, 4, 3214868480
	.type	__hip_cuid_a9ec0aad9cbed448,@object ; @__hip_cuid_a9ec0aad9cbed448
	.section	.bss,"aw",@nobits
	.globl	__hip_cuid_a9ec0aad9cbed448
__hip_cuid_a9ec0aad9cbed448:
	.byte	0                               ; 0x0
	.size	__hip_cuid_a9ec0aad9cbed448, 1

	.ident	"AMD clang version 19.0.0git (https://github.com/RadeonOpenCompute/llvm-project roc-6.4.0 25133 c7fe45cf4b819c5991fe208aaa96edf142730f1d)"
	.section	".note.GNU-stack","",@progbits
	.addrsig
	.addrsig_sym __hip_cuid_a9ec0aad9cbed448
	.amdgpu_metadata
---
amdhsa.kernels:
  - .args:
      - .actual_access:  read_only
        .address_space:  global
        .offset:         0
        .size:           8
        .value_kind:     global_buffer
      - .offset:         8
        .size:           8
        .value_kind:     by_value
      - .actual_access:  read_only
        .address_space:  global
        .offset:         16
        .size:           8
        .value_kind:     global_buffer
      - .actual_access:  read_only
        .address_space:  global
        .offset:         24
        .size:           8
        .value_kind:     global_buffer
      - .offset:         32
        .size:           8
        .value_kind:     by_value
      - .actual_access:  read_only
        .address_space:  global
        .offset:         40
        .size:           8
        .value_kind:     global_buffer
      - .actual_access:  read_only
        .address_space:  global
        .offset:         48
        .size:           8
        .value_kind:     global_buffer
      - .offset:         56
        .size:           4
        .value_kind:     by_value
      - .actual_access:  read_only
        .address_space:  global
        .offset:         64
        .size:           8
        .value_kind:     global_buffer
      - .actual_access:  read_only
        .address_space:  global
        .offset:         72
        .size:           8
        .value_kind:     global_buffer
      - .address_space:  global
        .offset:         80
        .size:           8
        .value_kind:     global_buffer
    .group_segment_fixed_size: 0
    .kernarg_segment_align: 8
    .kernarg_segment_size: 88
    .language:       OpenCL C
    .language_version:
      - 2
      - 0
    .max_flat_workgroup_size: 198
    .name:           fft_rtc_fwd_len1188_factors_6_11_2_3_3_wgs_198_tpt_66_halfLds_half_ip_CI_unitstride_sbrr_R2C_dirReg
    .private_segment_fixed_size: 0
    .sgpr_count:     34
    .sgpr_spill_count: 0
    .symbol:         fft_rtc_fwd_len1188_factors_6_11_2_3_3_wgs_198_tpt_66_halfLds_half_ip_CI_unitstride_sbrr_R2C_dirReg.kd
    .uniform_work_group_size: 1
    .uses_dynamic_stack: false
    .vgpr_count:     149
    .vgpr_spill_count: 0
    .wavefront_size: 32
    .workgroup_processor_mode: 1
amdhsa.target:   amdgcn-amd-amdhsa--gfx1201
amdhsa.version:
  - 1
  - 2
...

	.end_amdgpu_metadata
